;; amdgpu-corpus repo=ROCm/rocFFT kind=compiled arch=gfx1201 opt=O3
	.text
	.amdgcn_target "amdgcn-amd-amdhsa--gfx1201"
	.amdhsa_code_object_version 6
	.protected	bluestein_single_fwd_len1326_dim1_dp_op_CI_CI ; -- Begin function bluestein_single_fwd_len1326_dim1_dp_op_CI_CI
	.globl	bluestein_single_fwd_len1326_dim1_dp_op_CI_CI
	.p2align	8
	.type	bluestein_single_fwd_len1326_dim1_dp_op_CI_CI,@function
bluestein_single_fwd_len1326_dim1_dp_op_CI_CI: ; @bluestein_single_fwd_len1326_dim1_dp_op_CI_CI
; %bb.0:
	s_load_b128 s[8:11], s[0:1], 0x28
	v_mul_u32_u24_e32 v1, 0x283, v0
	v_mov_b32_e32 v4, 0
	s_mov_b32 s2, exec_lo
	s_delay_alu instid0(VALU_DEP_2) | instskip(NEXT) | instid1(VALU_DEP_1)
	v_lshrrev_b32_e32 v1, 16, v1
	v_lshl_add_u32 v3, ttmp9, 1, v1
	s_delay_alu instid0(VALU_DEP_1)
	v_mov_b32_e32 v2, v3
	scratch_store_b64 off, v[2:3], off      ; 8-byte Folded Spill
	s_wait_kmcnt 0x0
	v_cmpx_gt_u64_e64 s[8:9], v[3:4]
	s_cbranch_execz .LBB0_23
; %bb.1:
	v_mul_lo_u16 v2, 0x66, v1
	s_clause 0x1
	s_load_b64 s[8:9], s[0:1], 0x0
	s_load_b64 s[12:13], s[0:1], 0x38
	v_and_b32_e32 v1, 1, v1
	v_sub_nc_u16 v0, v0, v2
	s_delay_alu instid0(VALU_DEP_2) | instskip(NEXT) | instid1(VALU_DEP_2)
	v_cmp_eq_u32_e32 vcc_lo, 1, v1
	v_and_b32_e32 v255, 0xffff, v0
	v_cndmask_b32_e64 v212, 0, 0x52e, vcc_lo
	v_cmp_gt_u16_e32 vcc_lo, 0x4e, v0
	s_delay_alu instid0(VALU_DEP_2)
	v_lshlrev_b32_e32 v0, 4, v212
	scratch_store_b32 off, v0, off offset:8 ; 4-byte Folded Spill
	s_and_saveexec_b32 s3, vcc_lo
	s_cbranch_execz .LBB0_3
; %bb.2:
	scratch_load_b64 v[0:1], off, off       ; 8-byte Folded Reload
	s_load_b64 s[4:5], s[0:1], 0x18
	s_wait_kmcnt 0x0
	s_load_b128 s[4:7], s[4:5], 0x0
	s_wait_kmcnt 0x0
	v_mad_co_u64_u32 v[32:33], null, s4, v255, 0
	s_wait_loadcnt 0x0
	s_delay_alu instid0(VALU_DEP_1) | instskip(NEXT) | instid1(VALU_DEP_1)
	v_dual_mov_b32 v1, v33 :: v_dual_mov_b32 v2, v0
	v_mad_co_u64_u32 v[16:17], null, s6, v2, 0
	s_delay_alu instid0(VALU_DEP_1) | instskip(NEXT) | instid1(VALU_DEP_1)
	v_mov_b32_e32 v0, v17
	v_mad_co_u64_u32 v[2:3], null, s7, v2, v[0:1]
	s_delay_alu instid0(VALU_DEP_1) | instskip(SKIP_3) | instid1(VALU_DEP_3)
	v_mov_b32_e32 v17, v2
	v_mad_co_u64_u32 v[18:19], null, s5, v255, v[1:2]
	v_lshlrev_b32_e32 v172, 4, v255
	s_mul_u64 s[4:5], s[4:5], 0x4e0
	v_lshlrev_b64_e32 v[34:35], 4, v[16:17]
	s_delay_alu instid0(VALU_DEP_3)
	v_mov_b32_e32 v33, v18
	s_clause 0x3
	global_load_b128 v[0:3], v172, s[8:9]
	global_load_b128 v[4:7], v172, s[8:9] offset:1248
	global_load_b128 v[8:11], v172, s[8:9] offset:2496
	;; [unrolled: 1-line block ×3, first 2 shown]
	v_add_co_u32 v42, s2, s10, v34
	s_delay_alu instid0(VALU_DEP_1)
	v_add_co_ci_u32_e64 v43, s2, s11, v35, s2
	v_lshlrev_b64_e32 v[40:41], 4, v[32:33]
	s_clause 0x5
	global_load_b128 v[16:19], v172, s[8:9] offset:4992
	global_load_b128 v[20:23], v172, s[8:9] offset:6240
	;; [unrolled: 1-line block ×6, first 2 shown]
	v_add_co_u32 v56, s2, v42, v40
	s_wait_alu 0xf1ff
	v_add_co_ci_u32_e64 v57, s2, v43, v41, s2
	s_clause 0x1
	global_load_b128 v[40:43], v172, s[8:9] offset:12480
	global_load_b128 v[44:47], v172, s[8:9] offset:13728
	s_wait_alu 0xfffe
	v_add_co_u32 v60, s2, v56, s4
	s_wait_alu 0xf1ff
	v_add_co_ci_u32_e64 v61, s2, s5, v57, s2
	s_clause 0x1
	global_load_b128 v[48:51], v172, s[8:9] offset:14976
	global_load_b128 v[52:55], v172, s[8:9] offset:16224
	v_add_co_u32 v64, s2, v60, s4
	s_wait_alu 0xf1ff
	v_add_co_ci_u32_e64 v65, s2, s5, v61, s2
	s_clause 0x1
	global_load_b128 v[56:59], v[56:57], off
	global_load_b128 v[60:63], v[60:61], off
	v_add_co_u32 v68, s2, v64, s4
	s_wait_alu 0xf1ff
	v_add_co_ci_u32_e64 v69, s2, s5, v65, s2
	s_delay_alu instid0(VALU_DEP_2) | instskip(SKIP_1) | instid1(VALU_DEP_2)
	v_add_co_u32 v72, s2, v68, s4
	s_wait_alu 0xf1ff
	v_add_co_ci_u32_e64 v73, s2, s5, v69, s2
	s_clause 0x1
	global_load_b128 v[64:67], v[64:65], off
	global_load_b128 v[68:71], v[68:69], off
	v_add_co_u32 v76, s2, v72, s4
	s_wait_alu 0xf1ff
	v_add_co_ci_u32_e64 v77, s2, s5, v73, s2
	global_load_b128 v[72:75], v[72:73], off
	v_add_co_u32 v80, s2, v76, s4
	s_wait_alu 0xf1ff
	v_add_co_ci_u32_e64 v81, s2, s5, v77, s2
	;; [unrolled: 4-line block ×12, first 2 shown]
	s_clause 0x1
	global_load_b128 v[116:119], v172, s[8:9] offset:17472
	global_load_b128 v[120:123], v172, s[8:9] offset:18720
	global_load_b128 v[124:127], v[124:125], off
	global_load_b128 v[128:131], v172, s[8:9] offset:19968
	global_load_b128 v[132:135], v[132:133], off
	s_wait_loadcnt 0x13
	v_mul_f64_e32 v[136:137], v[58:59], v[2:3]
	v_mul_f64_e32 v[2:3], v[56:57], v[2:3]
	s_wait_loadcnt 0x12
	v_mul_f64_e32 v[138:139], v[62:63], v[6:7]
	v_mul_f64_e32 v[6:7], v[60:61], v[6:7]
	;; [unrolled: 3-line block ×14, first 2 shown]
	v_fma_f64 v[54:55], v[56:57], v[0:1], v[136:137]
	v_fma_f64 v[56:57], v[58:59], v[0:1], -v[2:3]
	v_fma_f64 v[0:1], v[60:61], v[4:5], v[138:139]
	v_fma_f64 v[2:3], v[62:63], v[4:5], -v[6:7]
	s_wait_loadcnt 0x4
	v_mul_f64_e32 v[166:167], v[114:115], v[118:119]
	v_mul_f64_e32 v[118:119], v[112:113], v[118:119]
	s_wait_loadcnt 0x2
	v_mul_f64_e32 v[168:169], v[126:127], v[122:123]
	v_mul_f64_e32 v[122:123], v[124:125], v[122:123]
	;; [unrolled: 3-line block ×3, first 2 shown]
	v_fma_f64 v[4:5], v[64:65], v[8:9], v[140:141]
	v_fma_f64 v[6:7], v[66:67], v[8:9], -v[10:11]
	v_fma_f64 v[8:9], v[68:69], v[12:13], v[142:143]
	v_fma_f64 v[10:11], v[70:71], v[12:13], -v[14:15]
	;; [unrolled: 2-line block ×12, first 2 shown]
	v_lshlrev_b32_e32 v53, 4, v212
	v_fma_f64 v[58:59], v[112:113], v[116:117], v[166:167]
	v_fma_f64 v[60:61], v[114:115], v[116:117], -v[118:119]
	v_fma_f64 v[62:63], v[124:125], v[120:121], v[168:169]
	v_fma_f64 v[64:65], v[126:127], v[120:121], -v[122:123]
	;; [unrolled: 2-line block ×3, first 2 shown]
	v_lshl_add_u32 v52, v255, 4, v53
	v_add_nc_u32_e32 v53, v53, v172
	ds_store_b128 v52, v[54:57]
	ds_store_b128 v53, v[0:3] offset:1248
	ds_store_b128 v53, v[4:7] offset:2496
	;; [unrolled: 1-line block ×16, first 2 shown]
.LBB0_3:
	s_or_b32 exec_lo, exec_lo, s3
	global_wb scope:SCOPE_SE
	s_wait_storecnt_dscnt 0x0
	s_wait_kmcnt 0x0
	s_barrier_signal -1
	s_barrier_wait -1
	global_inv scope:SCOPE_SE
                                        ; implicit-def: $vgpr0_vgpr1
                                        ; implicit-def: $vgpr16_vgpr17
                                        ; implicit-def: $vgpr20_vgpr21
                                        ; implicit-def: $vgpr24_vgpr25
                                        ; implicit-def: $vgpr28_vgpr29
                                        ; implicit-def: $vgpr32_vgpr33
                                        ; implicit-def: $vgpr36_vgpr37
                                        ; implicit-def: $vgpr40_vgpr41
                                        ; implicit-def: $vgpr48_vgpr49
                                        ; implicit-def: $vgpr56_vgpr57
                                        ; implicit-def: $vgpr60_vgpr61
                                        ; implicit-def: $vgpr80_vgpr81
                                        ; implicit-def: $vgpr84_vgpr85
                                        ; implicit-def: $vgpr44_vgpr45
                                        ; implicit-def: $vgpr12_vgpr13
                                        ; implicit-def: $vgpr8_vgpr9
                                        ; implicit-def: $vgpr4_vgpr5
	s_and_saveexec_b32 s2, vcc_lo
	s_cbranch_execz .LBB0_5
; %bb.4:
	v_lshlrev_b32_e32 v0, 4, v255
	s_delay_alu instid0(VALU_DEP_1)
	v_lshl_add_u32 v4, v212, 4, v0
	ds_load_b128 v[0:3], v4
	ds_load_b128 v[16:19], v4 offset:1248
	ds_load_b128 v[20:23], v4 offset:2496
	;; [unrolled: 1-line block ×16, first 2 shown]
.LBB0_5:
	s_wait_alu 0xfffe
	s_or_b32 exec_lo, exec_lo, s2
	s_wait_dscnt 0x0
	v_add_f64_e64 v[168:169], v[18:19], -v[6:7]
	v_add_f64_e64 v[102:103], v[22:23], -v[10:11]
	s_mov_b32 s6, 0x5d8e7cdc
	s_mov_b32 s16, 0x2a9d6da3
	;; [unrolled: 1-line block ×4, first 2 shown]
	v_add_f64_e32 v[164:165], v[16:17], v[4:5]
	v_add_f64_e64 v[100:101], v[20:21], -v[8:9]
	s_mov_b32 s10, 0x370991
	s_mov_b32 s11, 0x3fedd6d0
	v_add_f64_e32 v[88:89], v[20:21], v[8:9]
	s_mov_b32 s14, 0x75d4884
	s_mov_b32 s15, 0x3fe7a5f6
	v_add_f64_e64 v[182:183], v[16:17], -v[4:5]
	v_add_f64_e32 v[178:179], v[18:19], v[6:7]
	v_add_f64_e32 v[96:97], v[22:23], v[10:11]
	v_add_f64_e64 v[114:115], v[26:27], -v[14:15]
	s_mov_b32 s20, 0x7c9e640b
	s_mov_b32 s21, 0xbfeca52d
	v_add_f64_e32 v[92:93], v[24:25], v[12:13]
	s_mov_b32 s18, 0x2b2883cd
	s_mov_b32 s24, 0xeb564b22
	;; [unrolled: 1-line block ×4, first 2 shown]
	v_add_f64_e64 v[112:113], v[24:25], -v[12:13]
	v_add_f64_e32 v[108:109], v[26:27], v[14:15]
	v_add_f64_e64 v[124:125], v[30:31], -v[46:47]
	v_add_f64_e32 v[104:105], v[28:29], v[44:45]
	s_mov_b32 s22, 0x3259b75e
	s_mov_b32 s23, 0x3fb79ee6
	v_add_f64_e64 v[126:127], v[28:29], -v[44:45]
	v_add_f64_e32 v[120:121], v[30:31], v[46:47]
	v_add_f64_e64 v[136:137], v[34:35], -v[86:87]
	s_mov_b32 s28, 0x923c349f
	s_mov_b32 s29, 0xbfeec746
	v_add_f64_e32 v[116:117], v[32:33], v[84:85]
	s_mov_b32 s26, 0xc61f0d01
	s_mov_b32 s27, 0xbfd183b1
	s_wait_alu 0xfffe
	v_mul_f64_e32 v[52:53], s[6:7], v[168:169]
	v_mul_f64_e32 v[54:55], s[16:17], v[102:103]
	;; [unrolled: 1-line block ×3, first 2 shown]
	v_add_f64_e64 v[142:143], v[32:33], -v[84:85]
	v_add_f64_e32 v[132:133], v[34:35], v[86:87]
	v_add_f64_e64 v[162:163], v[38:39], -v[82:83]
	s_mov_b32 s54, 0x6c9a05f6
	v_mul_f64_e32 v[64:65], s[16:17], v[100:101]
	v_mul_f64_e32 v[68:69], s[24:25], v[100:101]
	s_mov_b32 s55, 0xbfe9895b
	v_add_f64_e32 v[128:129], v[36:37], v[80:81]
	s_mov_b32 s30, 0x6ed5f1bb
	s_mov_b32 s31, 0xbfe348c8
	v_add_f64_e64 v[156:157], v[36:37], -v[80:81]
	v_add_f64_e32 v[144:145], v[38:39], v[82:83]
	v_add_f64_e64 v[172:173], v[42:43], -v[62:63]
	s_mov_b32 s38, 0x4363dd80
	s_mov_b32 s39, 0x3fe0d888
	;; [unrolled: 1-line block ×4, first 2 shown]
	v_add_f64_e32 v[138:139], v[40:41], v[60:61]
	s_mov_b32 s34, 0x910ea3b9
	s_mov_b32 s35, 0xbfeb34fa
	v_add_f64_e64 v[170:171], v[40:41], -v[60:61]
	v_add_f64_e32 v[152:153], v[42:43], v[62:63]
	v_add_f64_e64 v[176:177], v[50:51], -v[58:59]
	s_mov_b32 s40, 0xacd6c6b4
	s_mov_b32 s41, 0xbfc7851a
	v_add_f64_e32 v[148:149], v[48:49], v[56:57]
	s_mov_b32 s36, 0x7faef3
	s_mov_b32 s37, 0xbfef7484
	v_add_f64_e64 v[174:175], v[48:49], -v[56:57]
	v_add_f64_e32 v[158:159], v[50:51], v[58:59]
	v_mul_f64_e32 v[194:195], s[16:17], v[168:169]
	v_mul_f64_e32 v[196:197], s[16:17], v[182:183]
	s_mov_b32 s53, 0x3feec746
	s_mov_b32 s52, s28
	;; [unrolled: 1-line block ×4, first 2 shown]
	s_clause 0x1
	scratch_store_b64 off, v[54:55], off offset:12
	scratch_store_b64 off, v[52:53], off offset:236
	v_fma_f64 v[52:53], v[164:165], s[10:11], v[52:53]
	v_fma_f64 v[54:55], v[88:89], s[14:15], v[54:55]
	s_mov_b32 s45, 0x3fd71e95
	s_mov_b32 s44, s6
	scratch_store_b64 off, v[64:65], off offset:44 ; 8-byte Folded Spill
	v_fma_f64 v[64:65], v[96:97], s[14:15], -v[64:65]
	v_mul_f64_e32 v[198:199], s[20:21], v[168:169]
	v_mul_f64_e32 v[200:201], s[20:21], v[182:183]
	v_mul_f64_e32 v[215:216], s[54:55], v[100:101]
	s_mov_b32 s49, 0x3fc7851a
	v_mul_f64_e32 v[221:222], s[52:53], v[156:157]
	s_mov_b32 s48, s40
	v_mul_f64_e32 v[239:240], s[52:53], v[126:127]
	v_mul_f64_e32 v[223:224], s[48:49], v[112:113]
	s_mov_b32 s51, 0x3fe58eea
	s_mov_b32 s50, s16
	v_mul_f64_e32 v[94:95], s[6:7], v[162:163]
	v_mul_f64_e32 v[235:236], s[50:51], v[136:137]
	;; [unrolled: 1-line block ×22, first 2 shown]
	v_add_f64_e32 v[52:53], v[0:1], v[52:53]
	s_mov_b32 s57, 0x3fe9895b
	s_mov_b32 s56, s54
	v_mul_f64_e32 v[249:250], s[50:51], v[176:177]
	v_mul_f64_e32 v[90:91], s[56:57], v[172:173]
	;; [unrolled: 1-line block ×14, first 2 shown]
	s_mov_b32 s59, 0x3fefdd0d
	s_mov_b32 s58, s24
	v_mul_f64_e32 v[140:141], s[6:7], v[172:173]
	v_mul_f64_e32 v[186:187], s[58:59], v[162:163]
	;; [unrolled: 1-line block ×4, first 2 shown]
	scratch_store_b64 off, v[66:67], off offset:260 ; 8-byte Folded Spill
	v_fma_f64 v[66:67], v[88:89], s[22:23], v[66:67]
	v_fma_f64 v[70:71], v[88:89], s[36:37], v[217:218]
	scratch_store_b64 off, v[68:69], off offset:300 ; 8-byte Folded Spill
	v_fma_f64 v[68:69], v[96:97], s[22:23], -v[68:69]
	v_fma_f64 v[72:73], v[96:97], s[36:37], -v[233:234]
	v_add_f64_e32 v[52:53], v[54:55], v[52:53]
	v_mul_f64_e32 v[54:55], s[6:7], v[182:183]
	v_fma_f64 v[130:131], v[96:97], s[34:35], -v[253:254]
	scratch_store_b64 off, v[54:55], off offset:252 ; 8-byte Folded Spill
	v_fma_f64 v[54:55], v[178:179], s[10:11], -v[54:55]
	s_delay_alu instid0(VALU_DEP_1) | instskip(NEXT) | instid1(VALU_DEP_1)
	v_add_f64_e32 v[54:55], v[2:3], v[54:55]
	v_add_f64_e32 v[54:55], v[64:65], v[54:55]
	v_mul_f64_e32 v[64:65], s[20:21], v[114:115]
	scratch_store_b64 off, v[64:65], off offset:28 ; 8-byte Folded Spill
	v_fma_f64 v[64:65], v[92:93], s[18:19], v[64:65]
	s_delay_alu instid0(VALU_DEP_1) | instskip(SKIP_3) | instid1(VALU_DEP_1)
	v_add_f64_e32 v[52:53], v[64:65], v[52:53]
	v_mul_f64_e32 v[64:65], s[20:21], v[112:113]
	scratch_store_b64 off, v[64:65], off offset:76 ; 8-byte Folded Spill
	v_fma_f64 v[64:65], v[108:109], s[18:19], -v[64:65]
	v_add_f64_e32 v[54:55], v[64:65], v[54:55]
	v_mul_f64_e32 v[64:65], s[24:25], v[124:125]
	scratch_store_b64 off, v[64:65], off offset:60 ; 8-byte Folded Spill
	v_fma_f64 v[64:65], v[104:105], s[22:23], v[64:65]
	s_delay_alu instid0(VALU_DEP_1) | instskip(SKIP_3) | instid1(VALU_DEP_1)
	v_add_f64_e32 v[52:53], v[64:65], v[52:53]
	v_mul_f64_e32 v[64:65], s[24:25], v[126:127]
	scratch_store_b64 off, v[64:65], off offset:108 ; 8-byte Folded Spill
	v_fma_f64 v[64:65], v[120:121], s[22:23], -v[64:65]
	;; [unrolled: 9-line block ×6, first 2 shown]
	v_add_f64_e32 v[54:55], v[64:65], v[54:55]
	v_fma_f64 v[64:65], v[164:165], s[14:15], v[194:195]
	s_delay_alu instid0(VALU_DEP_1) | instskip(NEXT) | instid1(VALU_DEP_1)
	v_add_f64_e32 v[64:65], v[0:1], v[64:65]
	v_add_f64_e32 v[64:65], v[66:67], v[64:65]
	v_fma_f64 v[66:67], v[178:179], s[14:15], -v[196:197]
	s_delay_alu instid0(VALU_DEP_1) | instskip(NEXT) | instid1(VALU_DEP_1)
	v_add_f64_e32 v[66:67], v[2:3], v[66:67]
	v_add_f64_e32 v[66:67], v[68:69], v[66:67]
	v_mul_f64_e32 v[68:69], s[54:55], v[114:115]
	scratch_store_b64 off, v[68:69], off offset:276 ; 8-byte Folded Spill
	v_fma_f64 v[68:69], v[92:93], s[30:31], v[68:69]
	s_delay_alu instid0(VALU_DEP_1) | instskip(SKIP_3) | instid1(VALU_DEP_1)
	v_add_f64_e32 v[64:65], v[68:69], v[64:65]
	v_mul_f64_e32 v[68:69], s[54:55], v[112:113]
	scratch_store_b64 off, v[68:69], off offset:308 ; 8-byte Folded Spill
	v_fma_f64 v[68:69], v[108:109], s[30:31], -v[68:69]
	v_add_f64_e32 v[66:67], v[68:69], v[66:67]
	v_mul_f64_e32 v[68:69], s[40:41], v[124:125]
	scratch_store_b64 off, v[68:69], off offset:284 ; 8-byte Folded Spill
	v_fma_f64 v[68:69], v[104:105], s[36:37], v[68:69]
	s_delay_alu instid0(VALU_DEP_1) | instskip(SKIP_3) | instid1(VALU_DEP_1)
	v_add_f64_e32 v[64:65], v[68:69], v[64:65]
	v_mul_f64_e32 v[68:69], s[40:41], v[126:127]
	scratch_store_b64 off, v[68:69], off offset:356 ; 8-byte Folded Spill
	v_fma_f64 v[68:69], v[120:121], s[36:37], -v[68:69]
	;; [unrolled: 9-line block ×3, first 2 shown]
	v_add_f64_e32 v[66:67], v[68:69], v[66:67]
	v_mul_f64_e32 v[68:69], s[52:53], v[162:163]
	scratch_store_b64 off, v[68:69], off offset:372 ; 8-byte Folded Spill
	v_fma_f64 v[68:69], v[128:129], s[26:27], v[68:69]
	s_delay_alu instid0(VALU_DEP_1) | instskip(SKIP_1) | instid1(VALU_DEP_1)
	v_add_f64_e32 v[64:65], v[68:69], v[64:65]
	v_fma_f64 v[68:69], v[144:145], s[26:27], -v[221:222]
	v_add_f64_e32 v[66:67], v[68:69], v[66:67]
	v_mul_f64_e32 v[68:69], s[46:47], v[172:173]
	scratch_store_b64 off, v[68:69], off offset:340 ; 8-byte Folded Spill
	v_fma_f64 v[68:69], v[138:139], s[18:19], v[68:69]
	s_delay_alu instid0(VALU_DEP_1) | instskip(SKIP_1) | instid1(VALU_DEP_1)
	v_add_f64_e32 v[64:65], v[68:69], v[64:65]
	v_fma_f64 v[68:69], v[152:153], s[18:19], -v[213:214]
	v_add_f64_e32 v[66:67], v[68:69], v[66:67]
	v_mul_f64_e32 v[68:69], s[44:45], v[176:177]
	scratch_store_b64 off, v[68:69], off offset:364 ; 8-byte Folded Spill
	v_fma_f64 v[68:69], v[148:149], s[10:11], v[68:69]
	s_delay_alu instid0(VALU_DEP_1) | instskip(SKIP_2) | instid1(VALU_DEP_2)
	v_add_f64_e32 v[76:77], v[68:69], v[64:65]
	v_fma_f64 v[64:65], v[158:159], s[10:11], -v[219:220]
	v_fma_f64 v[68:69], v[96:97], s[30:31], -v[215:216]
	v_add_f64_e32 v[78:79], v[64:65], v[66:67]
	v_fma_f64 v[64:65], v[164:165], s[18:19], v[198:199]
	v_mul_f64_e32 v[66:67], s[54:55], v[102:103]
	s_delay_alu instid0(VALU_DEP_2) | instskip(SKIP_2) | instid1(VALU_DEP_1)
	v_add_f64_e32 v[64:65], v[0:1], v[64:65]
	scratch_store_b64 off, v[66:67], off offset:348 ; 8-byte Folded Spill
	v_fma_f64 v[66:67], v[88:89], s[30:31], v[66:67]
	v_add_f64_e32 v[64:65], v[66:67], v[64:65]
	v_fma_f64 v[66:67], v[178:179], s[18:19], -v[200:201]
	s_delay_alu instid0(VALU_DEP_1) | instskip(NEXT) | instid1(VALU_DEP_1)
	v_add_f64_e32 v[66:67], v[2:3], v[66:67]
	v_add_f64_e32 v[66:67], v[68:69], v[66:67]
	v_mul_f64_e32 v[68:69], s[48:49], v[114:115]
	scratch_store_b64 off, v[68:69], off offset:380 ; 8-byte Folded Spill
	v_fma_f64 v[68:69], v[92:93], s[36:37], v[68:69]
	s_delay_alu instid0(VALU_DEP_1) | instskip(SKIP_1) | instid1(VALU_DEP_1)
	v_add_f64_e32 v[64:65], v[68:69], v[64:65]
	v_fma_f64 v[68:69], v[108:109], s[36:37], -v[223:224]
	v_add_f64_e32 v[66:67], v[68:69], v[66:67]
	v_mul_f64_e32 v[68:69], s[52:53], v[124:125]
	scratch_store_b64 off, v[68:69], off offset:388 ; 8-byte Folded Spill
	v_fma_f64 v[68:69], v[104:105], s[26:27], v[68:69]
	s_clause 0x1
	s_load_b64 s[4:5], s[0:1], 0x20
	s_load_b64 s[2:3], s[0:1], 0x8
	global_wb scope:SCOPE_SE
	s_wait_storecnt 0x0
	s_wait_kmcnt 0x0
	s_barrier_signal -1
	s_barrier_wait -1
	global_inv scope:SCOPE_SE
	v_add_f64_e32 v[64:65], v[68:69], v[64:65]
	v_fma_f64 v[68:69], v[120:121], s[26:27], -v[239:240]
	s_delay_alu instid0(VALU_DEP_1) | instskip(SKIP_1) | instid1(VALU_DEP_1)
	v_add_f64_e32 v[66:67], v[68:69], v[66:67]
	v_fma_f64 v[68:69], v[116:117], s[14:15], v[235:236]
	v_add_f64_e32 v[64:65], v[68:69], v[64:65]
	v_fma_f64 v[68:69], v[132:133], s[14:15], -v[106:107]
	s_delay_alu instid0(VALU_DEP_1) | instskip(SKIP_1) | instid1(VALU_DEP_1)
	v_add_f64_e32 v[66:67], v[68:69], v[66:67]
	v_fma_f64 v[68:69], v[128:129], s[10:11], v[94:95]
	;; [unrolled: 5-line block ×5, first 2 shown]
	v_add_f64_e32 v[68:69], v[0:1], v[68:69]
	s_delay_alu instid0(VALU_DEP_1) | instskip(SKIP_1) | instid1(VALU_DEP_1)
	v_add_f64_e32 v[68:69], v[70:71], v[68:69]
	v_fma_f64 v[70:71], v[178:179], s[22:23], -v[204:205]
	v_add_f64_e32 v[70:71], v[2:3], v[70:71]
	s_delay_alu instid0(VALU_DEP_1) | instskip(SKIP_1) | instid1(VALU_DEP_1)
	v_add_f64_e32 v[70:71], v[72:73], v[70:71]
	v_fma_f64 v[72:73], v[92:93], s[26:27], v[225:226]
	v_add_f64_e32 v[68:69], v[72:73], v[68:69]
	v_fma_f64 v[72:73], v[108:109], s[26:27], -v[251:252]
	s_delay_alu instid0(VALU_DEP_1) | instskip(SKIP_1) | instid1(VALU_DEP_1)
	v_add_f64_e32 v[70:71], v[72:73], v[70:71]
	v_fma_f64 v[72:73], v[104:105], s[10:11], v[229:230]
	v_add_f64_e32 v[68:69], v[72:73], v[68:69]
	v_fma_f64 v[72:73], v[120:121], s[10:11], -v[118:119]
	;; [unrolled: 5-line block ×6, first 2 shown]
	s_delay_alu instid0(VALU_DEP_1) | instskip(SKIP_2) | instid1(VALU_DEP_2)
	v_add_f64_e32 v[74:75], v[68:69], v[70:71]
	v_fma_f64 v[68:69], v[164:165], s[26:27], v[206:207]
	v_fma_f64 v[70:71], v[88:89], s[34:35], v[227:228]
	v_add_f64_e32 v[68:69], v[0:1], v[68:69]
	s_delay_alu instid0(VALU_DEP_1) | instskip(SKIP_1) | instid1(VALU_DEP_1)
	v_add_f64_e32 v[68:69], v[70:71], v[68:69]
	v_fma_f64 v[70:71], v[178:179], s[26:27], -v[208:209]
	v_add_f64_e32 v[70:71], v[2:3], v[70:71]
	s_delay_alu instid0(VALU_DEP_1) | instskip(SKIP_1) | instid1(VALU_DEP_1)
	v_add_f64_e32 v[70:71], v[130:131], v[70:71]
	v_fma_f64 v[130:131], v[92:93], s[14:15], v[241:242]
	v_add_f64_e32 v[68:69], v[130:131], v[68:69]
	v_fma_f64 v[130:131], v[108:109], s[14:15], -v[134:135]
	s_delay_alu instid0(VALU_DEP_1) | instskip(SKIP_1) | instid1(VALU_DEP_1)
	v_add_f64_e32 v[70:71], v[130:131], v[70:71]
	v_fma_f64 v[130:131], v[104:105], s[18:19], v[243:244]
	v_add_f64_e32 v[68:69], v[130:131], v[68:69]
	v_fma_f64 v[130:131], v[120:121], s[18:19], -v[180:181]
	;; [unrolled: 5-line block ×5, first 2 shown]
	s_delay_alu instid0(VALU_DEP_1) | instskip(SKIP_1) | instid1(VALU_DEP_1)
	v_add_f64_e32 v[70:71], v[130:131], v[70:71]
	v_mul_f64_e32 v[130:131], s[54:55], v[176:177]
	v_fma_f64 v[166:167], v[148:149], s[30:31], v[130:131]
	s_delay_alu instid0(VALU_DEP_1) | instskip(SKIP_1) | instid1(VALU_DEP_1)
	v_add_f64_e32 v[68:69], v[166:167], v[68:69]
	v_mul_f64_e32 v[166:167], s[54:55], v[174:175]
	v_fma_f64 v[210:211], v[158:159], s[30:31], -v[166:167]
	s_delay_alu instid0(VALU_DEP_1)
	v_add_f64_e32 v[70:71], v[210:211], v[70:71]
	s_and_saveexec_b32 s0, vcc_lo
	s_cbranch_execz .LBB0_7
; %bb.6:
	v_add_f64_e32 v[16:17], v[0:1], v[16:17]
	v_add_f64_e32 v[18:19], v[2:3], v[18:19]
	scratch_load_b64 v[210:211], off, off offset:260 th:TH_LOAD_LU ; 8-byte Folded Reload
	v_add_f64_e32 v[16:17], v[16:17], v[20:21]
	v_add_f64_e32 v[18:19], v[18:19], v[22:23]
	v_mul_f64_e32 v[20:21], s[26:27], v[178:179]
	v_mul_f64_e32 v[22:23], s[26:27], v[164:165]
	s_delay_alu instid0(VALU_DEP_4) | instskip(NEXT) | instid1(VALU_DEP_4)
	v_add_f64_e32 v[16:17], v[16:17], v[24:25]
	v_add_f64_e32 v[18:19], v[18:19], v[26:27]
	v_mul_f64_e32 v[24:25], s[22:23], v[178:179]
	v_mul_f64_e32 v[26:27], s[22:23], v[164:165]
	v_add_f64_e32 v[20:21], v[208:209], v[20:21]
	v_add_f64_e64 v[22:23], v[22:23], -v[206:207]
	s_clause 0x1
	scratch_load_b64 v[206:207], off, off offset:372 th:TH_LOAD_LU
	scratch_load_b64 v[208:209], off, off offset:324 th:TH_LOAD_LU
	v_add_f64_e32 v[16:17], v[16:17], v[28:29]
	v_add_f64_e32 v[18:19], v[18:19], v[30:31]
	;; [unrolled: 1-line block ×3, first 2 shown]
	scratch_load_b64 v[204:205], off, off offset:300 th:TH_LOAD_LU ; 8-byte Folded Reload
	v_mul_f64_e32 v[28:29], s[18:19], v[178:179]
	v_mul_f64_e32 v[30:31], s[18:19], v[164:165]
	v_add_f64_e64 v[26:27], v[26:27], -v[202:203]
	scratch_load_b64 v[202:203], off, off offset:308 th:TH_LOAD_LU ; 8-byte Folded Reload
	v_add_f64_e32 v[16:17], v[16:17], v[32:33]
	v_add_f64_e32 v[18:19], v[18:19], v[34:35]
	v_mul_f64_e32 v[34:35], s[14:15], v[164:165]
	v_mul_f64_e32 v[32:33], s[14:15], v[178:179]
	v_add_f64_e32 v[28:29], v[200:201], v[28:29]
	v_add_f64_e64 v[30:31], v[30:31], -v[198:199]
	v_add_f64_e32 v[26:27], v[0:1], v[26:27]
	v_add_f64_e32 v[24:25], v[2:3], v[24:25]
	v_mul_f64_e32 v[198:199], s[26:27], v[158:159]
	v_mul_f64_e32 v[200:201], s[28:29], v[176:177]
	v_add_f64_e32 v[16:17], v[16:17], v[36:37]
	v_add_f64_e32 v[18:19], v[18:19], v[38:39]
	scratch_load_b64 v[38:39], off, off offset:252 th:TH_LOAD_LU ; 8-byte Folded Reload
	v_mul_f64_e32 v[36:37], s[10:11], v[178:179]
	v_add_f64_e64 v[34:35], v[34:35], -v[194:195]
	v_add_f64_e32 v[32:33], v[196:197], v[32:33]
	v_mul_f64_e32 v[194:195], s[58:59], v[176:177]
	v_mul_f64_e32 v[196:197], s[50:51], v[172:173]
	v_add_f64_e32 v[16:17], v[16:17], v[40:41]
	v_add_f64_e32 v[18:19], v[18:19], v[42:43]
	v_mul_f64_e32 v[40:41], s[42:43], v[168:169]
	v_mul_f64_e32 v[42:43], s[54:55], v[168:169]
	s_delay_alu instid0(VALU_DEP_4) | instskip(NEXT) | instid1(VALU_DEP_4)
	v_add_f64_e32 v[16:17], v[16:17], v[48:49]
	v_add_f64_e32 v[18:19], v[18:19], v[50:51]
	v_mul_f64_e32 v[50:51], s[10:11], v[164:165]
	s_delay_alu instid0(VALU_DEP_4)
	v_fma_f64 v[48:49], v[164:165], s[30:31], v[42:43]
	v_fma_f64 v[42:43], v[164:165], s[30:31], -v[42:43]
	v_add_f64_e32 v[16:17], v[16:17], v[56:57]
	scratch_load_b64 v[56:57], off, off offset:236 th:TH_LOAD_LU ; 8-byte Folded Reload
	v_add_f64_e32 v[18:19], v[18:19], v[58:59]
	v_add_f64_e32 v[48:49], v[0:1], v[48:49]
	;; [unrolled: 1-line block ×4, first 2 shown]
	s_delay_alu instid0(VALU_DEP_4)
	v_add_f64_e32 v[18:19], v[18:19], v[62:63]
	v_add_f64_e32 v[62:63], v[2:3], v[20:21]
	;; [unrolled: 1-line block ×3, first 2 shown]
	v_mul_f64_e32 v[28:29], s[34:35], v[108:109]
	v_add_f64_e32 v[16:17], v[16:17], v[80:81]
	v_add_f64_e32 v[80:81], v[0:1], v[22:23]
	;; [unrolled: 1-line block ×4, first 2 shown]
	v_fma_f64 v[30:31], v[112:113], s[38:39], v[28:29]
	v_add_f64_e32 v[16:17], v[16:17], v[84:85]
	s_delay_alu instid0(VALU_DEP_4) | instskip(NEXT) | instid1(VALU_DEP_2)
	v_add_f64_e32 v[18:19], v[18:19], v[86:87]
	v_add_f64_e32 v[16:17], v[16:17], v[44:45]
	s_delay_alu instid0(VALU_DEP_2) | instskip(SKIP_2) | instid1(VALU_DEP_4)
	v_add_f64_e32 v[18:19], v[18:19], v[46:47]
	v_fma_f64 v[46:47], v[164:165], s[34:35], v[40:41]
	v_fma_f64 v[40:41], v[164:165], s[34:35], -v[40:41]
	v_add_f64_e32 v[12:13], v[16:17], v[12:13]
	v_mul_f64_e32 v[16:17], s[30:31], v[178:179]
	v_add_f64_e32 v[14:15], v[18:19], v[14:15]
	v_add_f64_e32 v[46:47], v[0:1], v[46:47]
	;; [unrolled: 1-line block ×3, first 2 shown]
	s_wait_loadcnt 0x1
	v_add_f64_e32 v[36:37], v[38:39], v[36:37]
	v_mul_f64_e32 v[38:39], s[40:41], v[168:169]
	v_add_f64_e32 v[8:9], v[12:13], v[8:9]
	v_mul_f64_e32 v[12:13], s[34:35], v[178:179]
	v_add_f64_e32 v[10:11], v[14:15], v[10:11]
	v_fma_f64 v[18:19], v[182:183], s[56:57], v[16:17]
	v_fma_f64 v[16:17], v[182:183], s[54:55], v[16:17]
	v_add_f64_e32 v[82:83], v[2:3], v[36:37]
	v_fma_f64 v[44:45], v[164:165], s[36:37], v[38:39]
	v_fma_f64 v[38:39], v[164:165], s[36:37], -v[38:39]
	v_add_f64_e32 v[4:5], v[8:9], v[4:5]
	v_mul_f64_e32 v[8:9], s[36:37], v[178:179]
	v_fma_f64 v[14:15], v[182:183], s[38:39], v[12:13]
	v_fma_f64 v[12:13], v[182:183], s[42:43], v[12:13]
	v_add_f64_e32 v[6:7], v[10:11], v[6:7]
	v_add_f64_e32 v[58:59], v[2:3], v[18:19]
	;; [unrolled: 1-line block ×7, first 2 shown]
	v_fma_f64 v[10:11], v[182:183], s[48:49], v[8:9]
	v_fma_f64 v[8:9], v[182:183], s[40:41], v[8:9]
	v_add_f64_e32 v[14:15], v[2:3], v[14:15]
	v_mul_f64_e32 v[182:183], s[22:23], v[158:159]
	s_wait_loadcnt 0x0
	v_add_f64_e64 v[50:51], v[50:51], -v[56:57]
	v_add_f64_e32 v[56:57], v[2:3], v[12:13]
	v_mul_f64_e32 v[12:13], s[10:11], v[96:97]
	v_add_f64_e32 v[10:11], v[2:3], v[10:11]
	v_add_f64_e32 v[8:9], v[2:3], v[8:9]
	v_add_f64_e32 v[50:51], v[0:1], v[50:51]
	s_delay_alu instid0(VALU_DEP_4) | instskip(SKIP_1) | instid1(VALU_DEP_2)
	v_fma_f64 v[0:1], v[100:101], s[6:7], v[12:13]
	v_fma_f64 v[12:13], v[100:101], s[44:45], v[12:13]
	v_add_f64_e32 v[0:1], v[0:1], v[10:11]
	v_mul_f64_e32 v[10:11], s[44:45], v[102:103]
	s_delay_alu instid0(VALU_DEP_3)
	v_add_f64_e32 v[8:9], v[12:13], v[8:9]
	v_fma_f64 v[12:13], v[112:113], s[42:43], v[28:29]
	v_fma_f64 v[28:29], v[148:149], s[22:23], -v[194:195]
	v_add_f64_e32 v[0:1], v[30:31], v[0:1]
	v_fma_f64 v[2:3], v[88:89], s[10:11], v[10:11]
	v_mul_f64_e32 v[30:31], s[42:43], v[114:115]
	v_fma_f64 v[10:11], v[88:89], s[10:11], -v[10:11]
	v_add_f64_e32 v[8:9], v[12:13], v[8:9]
	s_delay_alu instid0(VALU_DEP_4) | instskip(NEXT) | instid1(VALU_DEP_4)
	v_add_f64_e32 v[2:3], v[2:3], v[44:45]
	v_fma_f64 v[32:33], v[92:93], s[34:35], v[30:31]
	s_delay_alu instid0(VALU_DEP_4)
	v_add_f64_e32 v[10:11], v[10:11], v[38:39]
	v_fma_f64 v[12:13], v[92:93], s[34:35], -v[30:31]
	v_mul_f64_e32 v[38:39], s[46:47], v[102:103]
	v_mul_f64_e32 v[30:31], s[34:35], v[132:133]
	v_add_f64_e32 v[2:3], v[32:33], v[2:3]
	v_mul_f64_e32 v[32:33], s[14:15], v[120:121]
	v_add_f64_e32 v[10:11], v[12:13], v[10:11]
	s_delay_alu instid0(VALU_DEP_2)
	v_fma_f64 v[34:35], v[126:127], s[16:17], v[32:33]
	v_fma_f64 v[12:13], v[126:127], s[50:51], v[32:33]
	scratch_load_b64 v[32:33], off, off offset:396 th:TH_LOAD_LU ; 8-byte Folded Reload
	v_add_f64_e32 v[0:1], v[34:35], v[0:1]
	v_mul_f64_e32 v[34:35], s[50:51], v[124:125]
	v_add_f64_e32 v[8:9], v[12:13], v[8:9]
	s_delay_alu instid0(VALU_DEP_2)
	v_fma_f64 v[36:37], v[104:105], s[14:15], v[34:35]
	v_fma_f64 v[12:13], v[104:105], s[14:15], -v[34:35]
	scratch_load_b64 v[34:35], off, off offset:356 th:TH_LOAD_LU ; 8-byte Folded Reload
	v_add_f64_e32 v[2:3], v[36:37], v[2:3]
	v_mul_f64_e32 v[36:37], s[30:31], v[132:133]
	v_add_f64_e32 v[10:11], v[12:13], v[10:11]
	s_delay_alu instid0(VALU_DEP_2) | instskip(SKIP_2) | instid1(VALU_DEP_3)
	v_fma_f64 v[44:45], v[142:143], s[56:57], v[36:37]
	v_fma_f64 v[12:13], v[142:143], s[54:55], v[36:37]
	v_mul_f64_e32 v[36:37], s[18:19], v[96:97]
	v_add_f64_e32 v[0:1], v[44:45], v[0:1]
	v_mul_f64_e32 v[44:45], s[54:55], v[136:137]
	s_delay_alu instid0(VALU_DEP_4) | instskip(NEXT) | instid1(VALU_DEP_2)
	v_add_f64_e32 v[8:9], v[12:13], v[8:9]
	v_fma_f64 v[84:85], v[116:117], s[30:31], v[44:45]
	v_fma_f64 v[12:13], v[116:117], s[30:31], -v[44:45]
	v_mul_f64_e32 v[44:45], s[22:23], v[108:109]
	s_delay_alu instid0(VALU_DEP_3) | instskip(SKIP_1) | instid1(VALU_DEP_4)
	v_add_f64_e32 v[2:3], v[84:85], v[2:3]
	v_mul_f64_e32 v[84:85], s[18:19], v[144:145]
	v_add_f64_e32 v[10:11], v[12:13], v[10:11]
	s_delay_alu instid0(VALU_DEP_2)
	v_fma_f64 v[86:87], v[156:157], s[20:21], v[84:85]
	v_fma_f64 v[12:13], v[156:157], s[46:47], v[84:85]
	v_mul_f64_e32 v[84:85], s[30:31], v[120:121]
	s_wait_loadcnt 0x1
	v_add_f64_e32 v[30:31], v[32:33], v[30:31]
	v_mul_f64_e32 v[32:33], s[36:37], v[120:121]
	v_add_f64_e32 v[0:1], v[86:87], v[0:1]
	v_mul_f64_e32 v[86:87], s[46:47], v[162:163]
	v_add_f64_e32 v[8:9], v[12:13], v[8:9]
	s_delay_alu instid0(VALU_DEP_2)
	v_fma_f64 v[164:165], v[128:129], s[18:19], v[86:87]
	v_fma_f64 v[12:13], v[128:129], s[18:19], -v[86:87]
	v_mul_f64_e32 v[86:87], s[56:57], v[124:125]
	s_wait_loadcnt 0x0
	v_add_f64_e32 v[32:33], v[34:35], v[32:33]
	v_mul_f64_e32 v[34:35], s[30:31], v[108:109]
	v_add_f64_e32 v[2:3], v[164:165], v[2:3]
	v_mul_f64_e32 v[164:165], s[26:27], v[152:153]
	v_add_f64_e32 v[10:11], v[12:13], v[10:11]
	s_delay_alu instid0(VALU_DEP_4) | instskip(SKIP_1) | instid1(VALU_DEP_4)
	v_add_f64_e32 v[34:35], v[202:203], v[34:35]
	v_mul_f64_e32 v[202:203], s[22:23], v[96:97]
	v_fma_f64 v[168:169], v[170:171], s[52:53], v[164:165]
	v_fma_f64 v[12:13], v[170:171], s[28:29], v[164:165]
	v_mul_f64_e32 v[164:165], s[10:11], v[132:133]
	s_delay_alu instid0(VALU_DEP_4)
	v_add_f64_e32 v[202:203], v[204:205], v[202:203]
	v_mul_f64_e32 v[204:205], s[26:27], v[128:129]
	v_add_f64_e32 v[0:1], v[168:169], v[0:1]
	v_mul_f64_e32 v[168:169], s[28:29], v[172:173]
	v_add_f64_e32 v[8:9], v[12:13], v[8:9]
	v_add_f64_e32 v[16:17], v[202:203], v[16:17]
	v_add_f64_e64 v[204:205], v[204:205], -v[206:207]
	v_mul_f64_e32 v[206:207], s[34:35], v[116:117]
	v_mul_f64_e32 v[202:203], s[36:37], v[104:105]
	v_fma_f64 v[12:13], v[138:139], s[26:27], -v[168:169]
	v_fma_f64 v[178:179], v[138:139], s[26:27], v[168:169]
	v_mul_f64_e32 v[168:169], s[6:7], v[136:137]
	v_add_f64_e32 v[16:17], v[34:35], v[16:17]
	v_mul_f64_e32 v[34:35], s[18:19], v[152:153]
	v_add_f64_e64 v[206:207], v[206:207], -v[208:209]
	v_mul_f64_e32 v[208:209], s[22:23], v[88:89]
	v_add_f64_e32 v[12:13], v[12:13], v[10:11]
	v_fma_f64 v[10:11], v[174:175], s[58:59], v[182:183]
	v_add_f64_e32 v[178:179], v[178:179], v[2:3]
	v_fma_f64 v[2:3], v[174:175], s[24:25], v[182:183]
	v_mul_f64_e32 v[182:183], s[40:41], v[162:163]
	v_add_f64_e32 v[16:17], v[32:33], v[16:17]
	v_mul_f64_e32 v[32:33], s[18:19], v[138:139]
	v_add_f64_e32 v[34:35], v[213:214], v[34:35]
	v_add_f64_e64 v[208:209], v[208:209], -v[210:211]
	v_mul_f64_e32 v[210:211], s[30:31], v[92:93]
	v_add_f64_e32 v[10:11], v[10:11], v[8:9]
	v_add_f64_e32 v[8:9], v[28:29], v[12:13]
	v_fma_f64 v[12:13], v[100:101], s[20:21], v[36:37]
	v_fma_f64 v[28:29], v[112:113], s[58:59], v[44:45]
	v_add_f64_e32 v[2:3], v[2:3], v[0:1]
	v_fma_f64 v[0:1], v[148:149], s[22:23], v[194:195]
	v_mul_f64_e32 v[194:195], s[14:15], v[152:153]
	v_fma_f64 v[36:37], v[100:101], s[46:47], v[36:37]
	v_add_f64_e32 v[16:17], v[30:31], v[16:17]
	v_mul_f64_e32 v[30:31], s[10:11], v[158:159]
	v_add_f64_e32 v[18:19], v[208:209], v[18:19]
	scratch_load_b64 v[208:209], off, off offset:284 th:TH_LOAD_LU ; 8-byte Folded Reload
	v_add_f64_e32 v[12:13], v[12:13], v[14:15]
	v_fma_f64 v[14:15], v[88:89], s[18:19], v[38:39]
	v_fma_f64 v[38:39], v[88:89], s[18:19], -v[38:39]
	v_add_f64_e32 v[0:1], v[0:1], v[178:179]
	v_mul_f64_e32 v[178:179], s[36:37], v[144:145]
	v_add_f64_e32 v[36:37], v[36:37], v[56:57]
	v_add_f64_e32 v[30:31], v[219:220], v[30:31]
	;; [unrolled: 1-line block ×4, first 2 shown]
	v_mul_f64_e32 v[46:47], s[24:25], v[114:115]
	v_add_f64_e32 v[38:39], v[38:39], v[40:41]
	v_fma_f64 v[40:41], v[112:113], s[24:25], v[44:45]
	v_fma_f64 v[44:45], v[148:149], s[26:27], -v[200:201]
	s_delay_alu instid0(VALU_DEP_4) | instskip(NEXT) | instid1(VALU_DEP_3)
	v_fma_f64 v[28:29], v[92:93], s[22:23], v[46:47]
	v_add_f64_e32 v[36:37], v[40:41], v[36:37]
	v_fma_f64 v[40:41], v[92:93], s[22:23], -v[46:47]
	s_delay_alu instid0(VALU_DEP_3) | instskip(SKIP_1) | instid1(VALU_DEP_3)
	v_add_f64_e32 v[14:15], v[28:29], v[14:15]
	v_fma_f64 v[28:29], v[126:127], s[54:55], v[84:85]
	v_add_f64_e32 v[38:39], v[40:41], v[38:39]
	v_fma_f64 v[40:41], v[126:127], s[56:57], v[84:85]
	s_delay_alu instid0(VALU_DEP_3) | instskip(SKIP_1) | instid1(VALU_DEP_3)
	v_add_f64_e32 v[12:13], v[28:29], v[12:13]
	v_fma_f64 v[28:29], v[104:105], s[30:31], v[86:87]
	v_add_f64_e32 v[36:37], v[40:41], v[36:37]
	v_fma_f64 v[40:41], v[104:105], s[30:31], -v[86:87]
	scratch_load_b64 v[86:87], off, off offset:28 th:TH_LOAD_LU ; 8-byte Folded Reload
	v_add_f64_e32 v[14:15], v[28:29], v[14:15]
	v_fma_f64 v[28:29], v[142:143], s[44:45], v[164:165]
	v_add_f64_e32 v[38:39], v[40:41], v[38:39]
	v_fma_f64 v[40:41], v[142:143], s[6:7], v[164:165]
	s_delay_alu instid0(VALU_DEP_3) | instskip(SKIP_1) | instid1(VALU_DEP_3)
	v_add_f64_e32 v[12:13], v[28:29], v[12:13]
	v_fma_f64 v[28:29], v[116:117], s[10:11], v[168:169]
	v_add_f64_e32 v[36:37], v[40:41], v[36:37]
	v_fma_f64 v[40:41], v[116:117], s[10:11], -v[168:169]
	s_delay_alu instid0(VALU_DEP_3) | instskip(SKIP_1) | instid1(VALU_DEP_3)
	v_add_f64_e32 v[14:15], v[28:29], v[14:15]
	v_fma_f64 v[28:29], v[156:157], s[48:49], v[178:179]
	v_add_f64_e32 v[38:39], v[40:41], v[38:39]
	v_fma_f64 v[40:41], v[156:157], s[40:41], v[178:179]
	s_wait_loadcnt 0x1
	v_add_f64_e64 v[202:203], v[202:203], -v[208:209]
	s_delay_alu instid0(VALU_DEP_4) | instskip(SKIP_1) | instid1(VALU_DEP_4)
	v_add_f64_e32 v[12:13], v[28:29], v[12:13]
	v_fma_f64 v[28:29], v[128:129], s[36:37], v[182:183]
	v_add_f64_e32 v[36:37], v[40:41], v[36:37]
	v_fma_f64 v[40:41], v[128:129], s[36:37], -v[182:183]
	s_delay_alu instid0(VALU_DEP_3) | instskip(SKIP_1) | instid1(VALU_DEP_3)
	v_add_f64_e32 v[14:15], v[28:29], v[14:15]
	v_fma_f64 v[28:29], v[170:171], s[16:17], v[194:195]
	v_add_f64_e32 v[38:39], v[40:41], v[38:39]
	v_fma_f64 v[40:41], v[170:171], s[50:51], v[194:195]
	s_delay_alu instid0(VALU_DEP_3) | instskip(SKIP_1) | instid1(VALU_DEP_3)
	v_add_f64_e32 v[12:13], v[28:29], v[12:13]
	v_fma_f64 v[28:29], v[138:139], s[14:15], v[196:197]
	v_add_f64_e32 v[36:37], v[40:41], v[36:37]
	v_fma_f64 v[40:41], v[138:139], s[14:15], -v[196:197]
	s_delay_alu instid0(VALU_DEP_3) | instskip(SKIP_1) | instid1(VALU_DEP_3)
	v_add_f64_e32 v[28:29], v[28:29], v[14:15]
	v_fma_f64 v[14:15], v[174:175], s[52:53], v[198:199]
	v_add_f64_e32 v[40:41], v[40:41], v[38:39]
	v_fma_f64 v[38:39], v[174:175], s[28:29], v[198:199]
	s_delay_alu instid0(VALU_DEP_3) | instskip(SKIP_1) | instid1(VALU_DEP_3)
	v_add_f64_e32 v[14:15], v[14:15], v[12:13]
	v_fma_f64 v[12:13], v[148:149], s[26:27], v[200:201]
	v_add_f64_e32 v[38:39], v[38:39], v[36:37]
	v_add_f64_e32 v[36:37], v[44:45], v[40:41]
	s_delay_alu instid0(VALU_DEP_3) | instskip(SKIP_1) | instid1(VALU_DEP_1)
	v_add_f64_e32 v[12:13], v[12:13], v[28:29]
	v_mul_f64_e32 v[28:29], s[26:27], v[144:145]
	v_add_f64_e32 v[28:29], v[221:222], v[28:29]
	scratch_load_b64 v[221:222], off, off offset:276 th:TH_LOAD_LU ; 8-byte Folded Reload
	v_add_f64_e32 v[16:17], v[28:29], v[16:17]
	v_mul_f64_e32 v[28:29], s[10:11], v[148:149]
	s_delay_alu instid0(VALU_DEP_2) | instskip(SKIP_1) | instid1(VALU_DEP_1)
	v_add_f64_e32 v[16:17], v[34:35], v[16:17]
	v_mul_f64_e32 v[34:35], s[36:37], v[108:109]
	v_add_f64_e32 v[34:35], v[223:224], v[34:35]
	s_wait_loadcnt 0x0
	v_add_f64_e64 v[210:211], v[210:211], -v[221:222]
	s_delay_alu instid0(VALU_DEP_1) | instskip(NEXT) | instid1(VALU_DEP_1)
	v_add_f64_e32 v[18:19], v[210:211], v[18:19]
	v_add_f64_e32 v[18:19], v[202:203], v[18:19]
	scratch_load_b64 v[202:203], off, off offset:340 th:TH_LOAD_LU ; 8-byte Folded Reload
	v_add_f64_e32 v[18:19], v[206:207], v[18:19]
	scratch_load_b64 v[206:207], off, off offset:380 th:TH_LOAD_LU ; 8-byte Folded Reload
	;; [unrolled: 2-line block ×3, first 2 shown]
	s_wait_loadcnt 0x2
	v_add_f64_e64 v[32:33], v[32:33], -v[202:203]
	scratch_load_b64 v[202:203], off, off offset:364 th:TH_LOAD_LU ; 8-byte Folded Reload
	v_add_f64_e32 v[32:33], v[32:33], v[18:19]
	v_add_f64_e32 v[18:19], v[30:31], v[16:17]
	v_mul_f64_e32 v[30:31], s[14:15], v[132:133]
	s_delay_alu instid0(VALU_DEP_1) | instskip(SKIP_1) | instid1(VALU_DEP_1)
	v_add_f64_e32 v[30:31], v[106:107], v[30:31]
	v_mul_f64_e32 v[106:107], s[30:31], v[96:97]
	v_add_f64_e32 v[106:107], v[215:216], v[106:107]
	s_delay_alu instid0(VALU_DEP_1) | instskip(SKIP_1) | instid1(VALU_DEP_2)
	v_add_f64_e32 v[20:21], v[106:107], v[20:21]
	v_mul_f64_e32 v[106:107], s[26:27], v[104:105]
	v_add_f64_e32 v[20:21], v[34:35], v[20:21]
	v_mul_f64_e32 v[34:35], s[22:23], v[152:153]
	s_delay_alu instid0(VALU_DEP_1) | instskip(SKIP_3) | instid1(VALU_DEP_2)
	v_add_f64_e32 v[34:35], v[247:248], v[34:35]
	s_wait_loadcnt 0x0
	v_add_f64_e64 v[28:29], v[28:29], -v[202:203]
	v_mul_f64_e32 v[202:203], s[30:31], v[88:89]
	v_add_f64_e32 v[16:17], v[28:29], v[32:33]
	s_delay_alu instid0(VALU_DEP_2) | instskip(SKIP_3) | instid1(VALU_DEP_4)
	v_add_f64_e64 v[202:203], v[202:203], -v[204:205]
	v_mul_f64_e32 v[28:29], s[10:11], v[144:145]
	v_mul_f64_e32 v[204:205], s[36:37], v[92:93]
	;; [unrolled: 1-line block ×3, first 2 shown]
	v_add_f64_e32 v[22:23], v[202:203], v[22:23]
	scratch_load_b64 v[202:203], off, off offset:388 th:TH_LOAD_LU ; 8-byte Folded Reload
	v_add_f64_e32 v[28:29], v[160:161], v[28:29]
	v_mul_f64_e32 v[160:161], s[10:11], v[128:129]
	v_add_f64_e64 v[204:205], v[204:205], -v[206:207]
	v_add_f64_e32 v[32:33], v[239:240], v[32:33]
	s_delay_alu instid0(VALU_DEP_3) | instskip(SKIP_1) | instid1(VALU_DEP_4)
	v_add_f64_e64 v[94:95], v[160:161], -v[94:95]
	v_mul_f64_e32 v[160:161], s[14:15], v[116:117]
	v_add_f64_e32 v[22:23], v[204:205], v[22:23]
	s_delay_alu instid0(VALU_DEP_4) | instskip(SKIP_1) | instid1(VALU_DEP_4)
	v_add_f64_e32 v[20:21], v[32:33], v[20:21]
	v_mul_f64_e32 v[32:33], s[22:23], v[138:139]
	v_add_f64_e64 v[160:161], v[160:161], -v[235:236]
	s_delay_alu instid0(VALU_DEP_3) | instskip(NEXT) | instid1(VALU_DEP_3)
	v_add_f64_e32 v[20:21], v[30:31], v[20:21]
	v_add_f64_e64 v[32:33], v[32:33], -v[237:238]
	v_mul_f64_e32 v[30:31], s[34:35], v[158:159]
	s_delay_alu instid0(VALU_DEP_3) | instskip(SKIP_1) | instid1(VALU_DEP_3)
	v_add_f64_e32 v[20:21], v[28:29], v[20:21]
	v_mul_f64_e32 v[28:29], s[34:35], v[148:149]
	v_add_f64_e32 v[30:31], v[245:246], v[30:31]
	s_delay_alu instid0(VALU_DEP_3) | instskip(NEXT) | instid1(VALU_DEP_3)
	v_add_f64_e32 v[20:21], v[34:35], v[20:21]
	v_add_f64_e64 v[28:29], v[28:29], -v[231:232]
	v_mul_f64_e32 v[34:35], s[26:27], v[108:109]
	s_delay_alu instid0(VALU_DEP_1) | instskip(SKIP_2) | instid1(VALU_DEP_1)
	v_add_f64_e32 v[34:35], v[251:252], v[34:35]
	s_wait_loadcnt 0x0
	v_add_f64_e64 v[106:107], v[106:107], -v[202:203]
	v_add_f64_e32 v[22:23], v[106:107], v[22:23]
	v_mul_f64_e32 v[106:107], s[34:35], v[128:129]
	s_delay_alu instid0(VALU_DEP_2) | instskip(NEXT) | instid1(VALU_DEP_2)
	v_add_f64_e32 v[22:23], v[160:161], v[22:23]
	v_add_f64_e64 v[106:107], v[106:107], -v[146:147]
	v_mul_f64_e32 v[146:147], s[26:27], v[92:93]
	s_delay_alu instid0(VALU_DEP_3) | instskip(SKIP_1) | instid1(VALU_DEP_3)
	v_add_f64_e32 v[22:23], v[94:95], v[22:23]
	v_mul_f64_e32 v[94:95], s[36:37], v[96:97]
	v_add_f64_e64 v[146:147], v[146:147], -v[225:226]
	s_delay_alu instid0(VALU_DEP_3) | instskip(SKIP_1) | instid1(VALU_DEP_4)
	v_add_f64_e32 v[32:33], v[32:33], v[22:23]
	v_add_f64_e32 v[22:23], v[30:31], v[20:21]
	;; [unrolled: 1-line block ×3, first 2 shown]
	v_mul_f64_e32 v[30:31], s[18:19], v[132:133]
	s_delay_alu instid0(VALU_DEP_4) | instskip(SKIP_1) | instid1(VALU_DEP_4)
	v_add_f64_e32 v[20:21], v[28:29], v[32:33]
	v_mul_f64_e32 v[32:33], s[10:11], v[120:121]
	v_add_f64_e32 v[24:25], v[94:95], v[24:25]
	v_mul_f64_e32 v[94:95], s[10:11], v[104:105]
	v_mul_f64_e32 v[28:29], s[34:35], v[144:145]
	v_add_f64_e32 v[30:31], v[154:155], v[30:31]
	v_add_f64_e32 v[32:33], v[118:119], v[32:33]
	v_mul_f64_e32 v[118:119], s[18:19], v[116:117]
	v_add_f64_e64 v[94:95], v[94:95], -v[229:230]
	v_add_f64_e32 v[24:25], v[34:35], v[24:25]
	v_add_f64_e32 v[28:29], v[188:189], v[28:29]
	v_mul_f64_e32 v[34:35], s[30:31], v[152:153]
	v_add_f64_e64 v[98:99], v[118:119], -v[98:99]
	v_mul_f64_e32 v[118:119], s[36:37], v[88:89]
	v_add_f64_e32 v[24:25], v[32:33], v[24:25]
	v_mul_f64_e32 v[32:33], s[30:31], v[138:139]
	v_add_f64_e32 v[34:35], v[122:123], v[34:35]
	s_delay_alu instid0(VALU_DEP_4) | instskip(NEXT) | instid1(VALU_DEP_4)
	v_add_f64_e64 v[118:119], v[118:119], -v[217:218]
	v_add_f64_e32 v[24:25], v[30:31], v[24:25]
	s_delay_alu instid0(VALU_DEP_4)
	v_add_f64_e64 v[32:33], v[32:33], -v[90:91]
	v_mul_f64_e32 v[30:31], s[14:15], v[158:159]
	v_mul_f64_e32 v[90:91], s[34:35], v[96:97]
	v_add_f64_e32 v[26:27], v[118:119], v[26:27]
	v_add_f64_e32 v[24:25], v[28:29], v[24:25]
	v_mul_f64_e32 v[28:29], s[14:15], v[148:149]
	v_add_f64_e32 v[30:31], v[110:111], v[30:31]
	v_add_f64_e32 v[90:91], v[253:254], v[90:91]
	;; [unrolled: 3-line block ×3, first 2 shown]
	v_add_f64_e64 v[28:29], v[28:29], -v[249:250]
	v_mul_f64_e32 v[34:35], s[14:15], v[108:109]
	v_add_f64_e32 v[62:63], v[90:91], v[62:63]
	v_add_f64_e64 v[110:111], v[110:111], -v[241:242]
	v_mul_f64_e32 v[90:91], s[18:19], v[104:105]
	v_add_f64_e32 v[26:27], v[94:95], v[26:27]
	v_mul_f64_e32 v[94:95], s[22:23], v[128:129]
	v_add_f64_e32 v[34:35], v[134:135], v[34:35]
	s_delay_alu instid0(VALU_DEP_4) | instskip(NEXT) | instid1(VALU_DEP_4)
	v_add_f64_e64 v[90:91], v[90:91], -v[243:244]
	v_add_f64_e32 v[26:27], v[98:99], v[26:27]
	v_mul_f64_e32 v[98:99], s[36:37], v[116:117]
	v_add_f64_e64 v[94:95], v[94:95], -v[186:187]
	v_add_f64_e32 v[34:35], v[34:35], v[62:63]
	s_delay_alu instid0(VALU_DEP_4) | instskip(SKIP_2) | instid1(VALU_DEP_3)
	v_add_f64_e32 v[26:27], v[106:107], v[26:27]
	v_mul_f64_e32 v[106:107], s[34:35], v[88:89]
	v_add_f64_e64 v[98:99], v[98:99], -v[150:151]
	v_add_f64_e32 v[32:33], v[32:33], v[26:27]
	s_delay_alu instid0(VALU_DEP_3) | instskip(SKIP_2) | instid1(VALU_DEP_4)
	v_add_f64_e64 v[106:107], v[106:107], -v[227:228]
	v_add_f64_e32 v[26:27], v[30:31], v[24:25]
	v_mul_f64_e32 v[30:31], s[36:37], v[132:133]
	v_add_f64_e32 v[24:25], v[28:29], v[32:33]
	v_mul_f64_e32 v[32:33], s[18:19], v[120:121]
	;; [unrolled: 2-line block ×3, first 2 shown]
	v_add_f64_e32 v[30:31], v[190:191], v[30:31]
	s_delay_alu instid0(VALU_DEP_4) | instskip(NEXT) | instid1(VALU_DEP_4)
	v_add_f64_e32 v[32:33], v[180:181], v[32:33]
	v_add_f64_e32 v[62:63], v[110:111], v[80:81]
	s_delay_alu instid0(VALU_DEP_4) | instskip(SKIP_1) | instid1(VALU_DEP_4)
	v_add_f64_e32 v[28:29], v[192:193], v[28:29]
	v_mul_f64_e32 v[80:81], s[10:11], v[152:153]
	v_add_f64_e32 v[32:33], v[32:33], v[34:35]
	s_delay_alu instid0(VALU_DEP_4) | instskip(SKIP_1) | instid1(VALU_DEP_4)
	v_add_f64_e32 v[34:35], v[90:91], v[62:63]
	v_mul_f64_e32 v[62:63], s[10:11], v[138:139]
	v_add_f64_e32 v[80:81], v[184:185], v[80:81]
	s_delay_alu instid0(VALU_DEP_4) | instskip(NEXT) | instid1(VALU_DEP_4)
	v_add_f64_e32 v[30:31], v[30:31], v[32:33]
	v_add_f64_e32 v[32:33], v[98:99], v[34:35]
	s_delay_alu instid0(VALU_DEP_4) | instskip(SKIP_1) | instid1(VALU_DEP_4)
	v_add_f64_e64 v[62:63], v[62:63], -v[140:141]
	v_mul_f64_e32 v[34:35], s[30:31], v[158:159]
	v_add_f64_e32 v[28:29], v[28:29], v[30:31]
	s_delay_alu instid0(VALU_DEP_4) | instskip(SKIP_1) | instid1(VALU_DEP_4)
	v_add_f64_e32 v[30:31], v[94:95], v[32:33]
	v_mul_f64_e32 v[32:33], s[30:31], v[148:149]
	v_add_f64_e32 v[34:35], v[166:167], v[34:35]
	s_delay_alu instid0(VALU_DEP_4) | instskip(NEXT) | instid1(VALU_DEP_4)
	v_add_f64_e32 v[28:29], v[80:81], v[28:29]
	v_add_f64_e32 v[62:63], v[62:63], v[30:31]
	s_delay_alu instid0(VALU_DEP_4) | instskip(SKIP_1) | instid1(VALU_DEP_4)
	v_add_f64_e64 v[32:33], v[32:33], -v[130:131]
	v_mul_f64_e32 v[130:131], s[18:19], v[158:159]
	v_add_f64_e32 v[30:31], v[34:35], v[28:29]
	s_delay_alu instid0(VALU_DEP_3) | instskip(SKIP_1) | instid1(VALU_DEP_4)
	v_add_f64_e32 v[28:29], v[32:33], v[62:63]
	v_mul_f64_e32 v[62:63], s[26:27], v[96:97]
	v_fma_f64 v[84:85], v[174:175], s[20:21], v[130:131]
	s_delay_alu instid0(VALU_DEP_2) | instskip(SKIP_1) | instid1(VALU_DEP_2)
	v_fma_f64 v[32:33], v[100:101], s[52:53], v[62:63]
	v_fma_f64 v[40:41], v[100:101], s[28:29], v[62:63]
	v_add_f64_e32 v[32:33], v[32:33], v[60:61]
	v_mul_f64_e32 v[60:61], s[52:53], v[102:103]
	s_delay_alu instid0(VALU_DEP_3) | instskip(NEXT) | instid1(VALU_DEP_2)
	v_add_f64_e32 v[40:41], v[40:41], v[58:59]
	v_fma_f64 v[34:35], v[88:89], s[26:27], -v[60:61]
	v_fma_f64 v[58:59], v[88:89], s[26:27], v[60:61]
	scratch_load_b64 v[60:61], off, off offset:44 th:TH_LOAD_LU ; 8-byte Folded Reload
	v_add_f64_e32 v[34:35], v[34:35], v[42:43]
	v_mul_f64_e32 v[42:43], s[10:11], v[108:109]
	v_add_f64_e32 v[48:49], v[58:59], v[48:49]
	scratch_load_b64 v[58:59], off, off offset:76 th:TH_LOAD_LU ; 8-byte Folded Reload
	v_fma_f64 v[80:81], v[112:113], s[6:7], v[42:43]
	v_fma_f64 v[42:43], v[112:113], s[44:45], v[42:43]
	s_delay_alu instid0(VALU_DEP_2) | instskip(SKIP_1) | instid1(VALU_DEP_3)
	v_add_f64_e32 v[32:33], v[80:81], v[32:33]
	v_mul_f64_e32 v[80:81], s[6:7], v[114:115]
	v_add_f64_e32 v[40:41], v[42:43], v[40:41]
	s_delay_alu instid0(VALU_DEP_2) | instskip(SKIP_1) | instid1(VALU_DEP_2)
	v_fma_f64 v[90:91], v[92:93], s[10:11], -v[80:81]
	v_fma_f64 v[42:43], v[92:93], s[10:11], v[80:81]
	v_add_f64_e32 v[34:35], v[90:91], v[34:35]
	v_mul_f64_e32 v[90:91], s[34:35], v[120:121]
	s_delay_alu instid0(VALU_DEP_3) | instskip(NEXT) | instid1(VALU_DEP_2)
	v_add_f64_e32 v[42:43], v[42:43], v[48:49]
	v_fma_f64 v[94:95], v[126:127], s[42:43], v[90:91]
	v_fma_f64 v[62:63], v[126:127], s[38:39], v[90:91]
	s_delay_alu instid0(VALU_DEP_2) | instskip(SKIP_1) | instid1(VALU_DEP_3)
	v_add_f64_e32 v[32:33], v[94:95], v[32:33]
	v_mul_f64_e32 v[94:95], s[42:43], v[124:125]
	v_add_f64_e32 v[40:41], v[62:63], v[40:41]
	v_mul_f64_e32 v[124:125], s[46:47], v[176:177]
	s_clause 0x1
	scratch_load_b64 v[62:63], off, off offset:124 th:TH_LOAD_LU
	scratch_load_b64 v[80:81], off, off offset:92 th:TH_LOAD_LU
	v_fma_f64 v[98:99], v[104:105], s[34:35], -v[94:95]
	v_fma_f64 v[48:49], v[104:105], s[34:35], v[94:95]
	s_delay_alu instid0(VALU_DEP_2) | instskip(SKIP_1) | instid1(VALU_DEP_3)
	v_add_f64_e32 v[34:35], v[98:99], v[34:35]
	v_mul_f64_e32 v[98:99], s[22:23], v[132:133]
	v_add_f64_e32 v[42:43], v[48:49], v[42:43]
	s_delay_alu instid0(VALU_DEP_2) | instskip(SKIP_1) | instid1(VALU_DEP_2)
	v_fma_f64 v[102:103], v[142:143], s[58:59], v[98:99]
	v_fma_f64 v[56:57], v[142:143], s[24:25], v[98:99]
	v_add_f64_e32 v[32:33], v[102:103], v[32:33]
	v_mul_f64_e32 v[102:103], s[58:59], v[136:137]
	s_delay_alu instid0(VALU_DEP_3) | instskip(SKIP_3) | instid1(VALU_DEP_2)
	v_add_f64_e32 v[40:41], v[56:57], v[40:41]
	scratch_load_b64 v[56:57], off, off offset:108 th:TH_LOAD_LU ; 8-byte Folded Reload
	v_fma_f64 v[106:107], v[116:117], s[22:23], -v[102:103]
	v_fma_f64 v[48:49], v[116:117], s[22:23], v[102:103]
	v_add_f64_e32 v[34:35], v[106:107], v[34:35]
	v_mul_f64_e32 v[106:107], s[14:15], v[144:145]
	s_delay_alu instid0(VALU_DEP_3) | instskip(SKIP_3) | instid1(VALU_DEP_2)
	v_add_f64_e32 v[42:43], v[48:49], v[42:43]
	scratch_load_b64 v[48:49], off, off offset:140 th:TH_LOAD_LU ; 8-byte Folded Reload
	v_fma_f64 v[110:111], v[156:157], s[16:17], v[106:107]
	v_fma_f64 v[46:47], v[156:157], s[50:51], v[106:107]
	v_add_f64_e32 v[32:33], v[110:111], v[32:33]
	v_mul_f64_e32 v[110:111], s[16:17], v[162:163]
	s_delay_alu instid0(VALU_DEP_3) | instskip(NEXT) | instid1(VALU_DEP_2)
	v_add_f64_e32 v[40:41], v[46:47], v[40:41]
	v_fma_f64 v[114:115], v[128:129], s[14:15], -v[110:111]
	v_fma_f64 v[46:47], v[128:129], s[14:15], v[110:111]
	s_delay_alu instid0(VALU_DEP_2) | instskip(SKIP_1) | instid1(VALU_DEP_3)
	v_add_f64_e32 v[34:35], v[114:115], v[34:35]
	v_mul_f64_e32 v[114:115], s[36:37], v[152:153]
	v_add_f64_e32 v[42:43], v[46:47], v[42:43]
	v_fma_f64 v[46:47], v[148:149], s[18:19], v[124:125]
	s_delay_alu instid0(VALU_DEP_3) | instskip(SKIP_1) | instid1(VALU_DEP_2)
	v_fma_f64 v[118:119], v[170:171], s[40:41], v[114:115]
	v_fma_f64 v[44:45], v[170:171], s[48:49], v[114:115]
	v_add_f64_e32 v[32:33], v[118:119], v[32:33]
	v_mul_f64_e32 v[118:119], s[40:41], v[172:173]
	s_delay_alu instid0(VALU_DEP_3) | instskip(NEXT) | instid1(VALU_DEP_2)
	v_add_f64_e32 v[40:41], v[44:45], v[40:41]
	v_fma_f64 v[44:45], v[138:139], s[36:37], v[118:119]
	v_fma_f64 v[122:123], v[138:139], s[36:37], -v[118:119]
	s_delay_alu instid0(VALU_DEP_2) | instskip(NEXT) | instid1(VALU_DEP_4)
	v_add_f64_e32 v[44:45], v[44:45], v[42:43]
	v_add_f64_e32 v[42:43], v[84:85], v[40:41]
	scratch_load_b64 v[84:85], off, off offset:12 th:TH_LOAD_LU ; 8-byte Folded Reload
	v_add_f64_e32 v[122:123], v[122:123], v[34:35]
	v_fma_f64 v[34:35], v[174:175], s[46:47], v[130:131]
	v_add_f64_e32 v[40:41], v[46:47], v[44:45]
	scratch_load_b64 v[46:47], off, off offset:172 th:TH_LOAD_LU ; 8-byte Folded Reload
	v_mul_f64_e32 v[44:45], s[30:31], v[144:145]
	v_add_f64_e32 v[34:35], v[34:35], v[32:33]
	v_fma_f64 v[32:33], v[148:149], s[18:19], -v[124:125]
	s_delay_alu instid0(VALU_DEP_1) | instskip(SKIP_1) | instid1(VALU_DEP_4)
	v_add_f64_e32 v[32:33], v[32:33], v[122:123]
	s_wait_loadcnt 0x0
	v_add_f64_e32 v[44:45], v[46:47], v[44:45]
	v_mul_f64_e32 v[46:47], s[26:27], v[132:133]
	s_delay_alu instid0(VALU_DEP_1) | instskip(SKIP_1) | instid1(VALU_DEP_1)
	v_add_f64_e32 v[46:47], v[48:49], v[46:47]
	v_mul_f64_e32 v[48:49], s[22:23], v[120:121]
	v_add_f64_e32 v[48:49], v[56:57], v[48:49]
	v_mul_f64_e32 v[56:57], s[18:19], v[108:109]
	s_delay_alu instid0(VALU_DEP_1) | instskip(SKIP_1) | instid1(VALU_DEP_1)
	v_add_f64_e32 v[56:57], v[58:59], v[56:57]
	v_mul_f64_e32 v[58:59], s[14:15], v[96:97]
	v_add_f64_e32 v[58:59], v[60:61], v[58:59]
	v_mul_f64_e32 v[60:61], s[30:31], v[128:129]
	s_delay_alu instid0(VALU_DEP_2)
	v_add_f64_e32 v[58:59], v[58:59], v[82:83]
	scratch_load_b64 v[82:83], off, off offset:60 th:TH_LOAD_LU ; 8-byte Folded Reload
	v_add_f64_e64 v[60:61], v[60:61], -v[62:63]
	v_mul_f64_e32 v[62:63], s[26:27], v[116:117]
	v_add_f64_e32 v[56:57], v[56:57], v[58:59]
	v_mul_f64_e32 v[58:59], s[34:35], v[152:153]
	s_delay_alu instid0(VALU_DEP_3) | instskip(SKIP_1) | instid1(VALU_DEP_4)
	v_add_f64_e64 v[62:63], v[62:63], -v[80:81]
	v_mul_f64_e32 v[80:81], s[14:15], v[88:89]
	v_add_f64_e32 v[48:49], v[48:49], v[56:57]
	v_mul_f64_e32 v[56:57], s[34:35], v[138:139]
	s_delay_alu instid0(VALU_DEP_3) | instskip(SKIP_1) | instid1(VALU_DEP_4)
	v_add_f64_e64 v[80:81], v[80:81], -v[84:85]
	v_mul_f64_e32 v[84:85], s[18:19], v[92:93]
	v_add_f64_e32 v[46:47], v[46:47], v[48:49]
	s_delay_alu instid0(VALU_DEP_3) | instskip(NEXT) | instid1(VALU_DEP_3)
	v_add_f64_e32 v[50:51], v[80:81], v[50:51]
	v_add_f64_e64 v[84:85], v[84:85], -v[86:87]
	v_mul_f64_e32 v[80:81], s[22:23], v[104:105]
	s_delay_alu instid0(VALU_DEP_4) | instskip(NEXT) | instid1(VALU_DEP_3)
	v_add_f64_e32 v[44:45], v[44:45], v[46:47]
	v_add_f64_e32 v[50:51], v[84:85], v[50:51]
	s_wait_loadcnt 0x0
	s_delay_alu instid0(VALU_DEP_3)
	v_add_f64_e64 v[80:81], v[80:81], -v[82:83]
	scratch_load_b64 v[82:83], off, off offset:204 th:TH_LOAD_LU ; 8-byte Folded Reload
	v_add_f64_e32 v[50:51], v[80:81], v[50:51]
	scratch_load_b64 v[80:81], off, off offset:156 th:TH_LOAD_LU ; 8-byte Folded Reload
	v_add_f64_e32 v[48:49], v[62:63], v[50:51]
	scratch_load_b64 v[62:63], off, off offset:220 th:TH_LOAD_LU ; 8-byte Folded Reload
	v_mul_f64_e32 v[50:51], s[36:37], v[158:159]
	v_add_f64_e32 v[46:47], v[60:61], v[48:49]
	scratch_load_b64 v[60:61], off, off offset:188 th:TH_LOAD_LU ; 8-byte Folded Reload
	v_mul_f64_e32 v[48:49], s[36:37], v[148:149]
	s_wait_loadcnt 0x3
	v_add_f64_e32 v[58:59], v[82:83], v[58:59]
	s_wait_loadcnt 0x2
	v_add_f64_e64 v[56:57], v[56:57], -v[80:81]
	s_delay_alu instid0(VALU_DEP_2) | instskip(SKIP_2) | instid1(VALU_DEP_3)
	v_add_f64_e32 v[44:45], v[58:59], v[44:45]
	s_wait_loadcnt 0x1
	v_add_f64_e32 v[50:51], v[62:63], v[50:51]
	v_add_f64_e32 v[56:57], v[56:57], v[46:47]
	s_wait_loadcnt 0x0
	v_add_f64_e64 v[48:49], v[48:49], -v[60:61]
	s_delay_alu instid0(VALU_DEP_3) | instskip(NEXT) | instid1(VALU_DEP_2)
	v_add_f64_e32 v[46:47], v[50:51], v[44:45]
	v_add_f64_e32 v[44:45], v[48:49], v[56:57]
	v_mul_lo_u16 v48, v255, 17
	s_delay_alu instid0(VALU_DEP_1) | instskip(NEXT) | instid1(VALU_DEP_1)
	v_and_b32_e32 v48, 0xffff, v48
	v_add_lshl_u32 v48, v212, v48, 4
	ds_store_b128 v48, v[16:19] offset:32
	ds_store_b128 v48, v[68:71] offset:192
	;; [unrolled: 1-line block ×15, first 2 shown]
	ds_store_b128 v48, v[4:7]
	ds_store_b128 v48, v[52:55] offset:256
.LBB0_7:
	s_wait_alu 0xfffe
	s_or_b32 exec_lo, exec_lo, s0
	v_add_lshl_u32 v12, v212, v255, 4
	global_wb scope:SCOPE_SE
	s_wait_dscnt 0x0
	s_barrier_signal -1
	s_barrier_wait -1
	global_inv scope:SCOPE_SE
	ds_load_b128 v[84:87], v12
	ds_load_b128 v[80:83], v12 offset:1632
	ds_load_b128 v[108:111], v12 offset:3536
	;; [unrolled: 1-line block ×11, first 2 shown]
	v_cmp_gt_u16_e64 s0, 17, v255
                                        ; implicit-def: $vgpr128_vgpr129
	s_delay_alu instid0(VALU_DEP_1)
	s_and_saveexec_b32 s1, s0
	s_cbranch_execz .LBB0_9
; %bb.8:
	ds_load_b128 v[68:71], v12 offset:3264
	ds_load_b128 v[72:75], v12 offset:6800
	;; [unrolled: 1-line block ×6, first 2 shown]
.LBB0_9:
	s_wait_alu 0xfffe
	s_or_b32 exec_lo, exec_lo, s1
	v_and_b32_e32 v0, 0xff, v255
	v_add_nc_u16 v1, v255, 0x66
	v_add_nc_u32_e32 v3, 0xcc, v255
	s_mov_b32 s6, 0xe8584caa
	s_mov_b32 s7, 0x3febb67a
	v_mul_lo_u16 v0, 0xf1, v0
	v_and_b32_e32 v2, 0xff, v1
	s_mov_b32 s11, 0xbfebb67a
	s_wait_alu 0xfffe
	s_mov_b32 s10, s6
	v_lshrrev_b16 v15, 12, v0
	v_mul_lo_u16 v0, 0xf1, v2
	v_and_b32_e32 v2, 0xffff, v3
	s_delay_alu instid0(VALU_DEP_3) | instskip(NEXT) | instid1(VALU_DEP_3)
	v_mul_lo_u16 v4, v15, 17
	v_lshrrev_b16 v9, 12, v0
	s_delay_alu instid0(VALU_DEP_3) | instskip(NEXT) | instid1(VALU_DEP_3)
	v_mul_u32_u24_e32 v0, 0xf0f1, v2
	v_sub_nc_u16 v2, v255, v4
	s_delay_alu instid0(VALU_DEP_3) | instskip(NEXT) | instid1(VALU_DEP_3)
	v_mul_lo_u16 v4, v9, 17
	v_lshrrev_b32_e32 v0, 20, v0
	v_and_b32_e32 v9, 0xffff, v9
	s_delay_alu instid0(VALU_DEP_4) | instskip(NEXT) | instid1(VALU_DEP_4)
	v_and_b32_e32 v10, 0xff, v2
	v_sub_nc_u16 v2, v1, v4
	s_delay_alu instid0(VALU_DEP_4) | instskip(NEXT) | instid1(VALU_DEP_4)
	v_mul_lo_u16 v4, v0, 17
	v_mul_u32_u24_e32 v9, 0x66, v9
	s_delay_alu instid0(VALU_DEP_4) | instskip(NEXT) | instid1(VALU_DEP_4)
	v_mad_co_u64_u32 v[0:1], null, 0x50, v10, s[2:3]
	v_and_b32_e32 v11, 0xff, v2
	s_delay_alu instid0(VALU_DEP_4)
	v_sub_nc_u16 v8, v3, v4
	s_clause 0x1
	global_load_b128 v[158:161], v[0:1], off offset:32
	global_load_b128 v[162:165], v[0:1], off offset:64
	v_mad_co_u64_u32 v[2:3], null, 0x50, v11, s[2:3]
	v_mul_lo_u16 v4, 0x50, v8
	v_and_b32_e32 v8, 0xffff, v8
	s_clause 0x1
	global_load_b128 v[150:153], v[2:3], off offset:32
	global_load_b128 v[154:157], v[2:3], off offset:64
	v_and_b32_e32 v4, 0xffff, v4
	v_add_nc_u32_e32 v9, v9, v11
	s_delay_alu instid0(VALU_DEP_2)
	v_add_co_u32 v4, s1, s2, v4
	s_wait_alu 0xf1ff
	v_add_co_ci_u32_e64 v5, null, s3, 0, s1
	s_clause 0xa
	global_load_b128 v[16:19], v[4:5], off offset:32
	global_load_b128 v[24:27], v[4:5], off offset:64
	global_load_b128 v[44:47], v[0:1], off
	global_load_b128 v[36:39], v[2:3], off
	;; [unrolled: 1-line block ×3, first 2 shown]
	global_load_b128 v[60:63], v[0:1], off offset:16
	global_load_b128 v[56:59], v[0:1], off offset:48
	;; [unrolled: 1-line block ×6, first 2 shown]
	scratch_store_b32 off, v8, off offset:252 ; 4-byte Folded Spill
	v_add_lshl_u32 v8, v212, v9, 4
	s_wait_loadcnt_dscnt 0xe05
	v_mul_f64_e32 v[0:1], v[122:123], v[160:161]
	v_mul_f64_e32 v[2:3], v[120:121], v[160:161]
	s_wait_loadcnt_dscnt 0xd01
	v_mul_f64_e32 v[4:5], v[124:125], v[164:165]
	v_mul_f64_e32 v[6:7], v[126:127], v[164:165]
	s_clause 0x1
	scratch_store_b128 off, v[158:161], off offset:172
	scratch_store_b128 off, v[162:165], off offset:188
	s_wait_loadcnt 0xc
	v_mul_f64_e32 v[13:14], v[114:115], v[152:153]
	v_mul_f64_e32 v[132:133], v[112:113], v[152:153]
	s_wait_loadcnt_dscnt 0xb00
	v_mul_f64_e32 v[134:135], v[116:117], v[156:157]
	v_mul_f64_e32 v[136:137], v[118:119], v[156:157]
	s_wait_loadcnt 0xa
	v_mul_f64_e32 v[138:139], v[78:79], v[18:19]
	v_mul_f64_e32 v[140:141], v[76:77], v[18:19]
	s_wait_loadcnt 0x9
	;; [unrolled: 3-line block ×3, first 2 shown]
	v_mul_f64_e32 v[146:147], v[110:111], v[46:47]
	v_mul_f64_e32 v[148:149], v[108:109], v[46:47]
	scratch_store_b128 off, v[150:153], off offset:124 ; 16-byte Folded Spill
	s_wait_loadcnt 0x5
	s_clause 0x1
	scratch_store_b128 off, v[60:63], off offset:108
	scratch_store_b128 off, v[154:157], off offset:140
	s_wait_loadcnt 0x1
	v_mul_f64_e32 v[152:153], v[64:65], v[34:35]
	s_wait_loadcnt 0x0
	v_mul_f64_e32 v[156:157], v[52:53], v[30:31]
	s_clause 0x8
	scratch_store_b128 off, v[16:19], off offset:404
	scratch_store_b128 off, v[20:23], off offset:420
	;; [unrolled: 1-line block ×9, first 2 shown]
	v_fma_f64 v[0:1], v[120:121], v[158:159], -v[0:1]
	v_fma_f64 v[2:3], v[122:123], v[158:159], v[2:3]
	v_fma_f64 v[4:5], v[126:127], v[162:163], v[4:5]
	v_fma_f64 v[6:7], v[124:125], v[162:163], -v[6:7]
	v_mul_f64_e32 v[120:121], v[106:107], v[38:39]
	v_mul_f64_e32 v[122:123], v[104:105], v[38:39]
	;; [unrolled: 1-line block ×3, first 2 shown]
	v_fma_f64 v[13:14], v[112:113], v[150:151], -v[13:14]
	v_fma_f64 v[112:113], v[114:115], v[150:151], v[132:133]
	v_fma_f64 v[114:115], v[118:119], v[154:155], v[134:135]
	v_fma_f64 v[116:117], v[116:117], v[154:155], -v[136:137]
	v_mul_f64_e32 v[118:119], v[74:75], v[22:23]
	v_fma_f64 v[76:77], v[76:77], v[16:17], -v[138:139]
	v_fma_f64 v[78:79], v[78:79], v[16:17], v[140:141]
	v_fma_f64 v[126:127], v[130:131], v[24:25], v[142:143]
	v_fma_f64 v[128:129], v[128:129], v[24:25], -v[144:145]
	v_mul_f64_e32 v[130:131], v[98:99], v[62:63]
	v_mul_f64_e32 v[132:133], v[96:97], v[62:63]
	;; [unrolled: 1-line block ×4, first 2 shown]
	v_fma_f64 v[108:109], v[108:109], v[44:45], -v[146:147]
	v_fma_f64 v[110:111], v[110:111], v[44:45], v[148:149]
	v_mul_f64_e32 v[142:143], v[90:91], v[50:51]
	v_mul_f64_e32 v[144:145], v[88:89], v[50:51]
	;; [unrolled: 1-line block ×6, first 2 shown]
	v_fma_f64 v[66:67], v[66:67], v[32:33], v[152:153]
	v_fma_f64 v[54:55], v[54:55], v[28:29], v[156:157]
	v_add_f64_e32 v[138:139], v[2:3], v[4:5]
	v_add_f64_e32 v[140:141], v[0:1], v[6:7]
	v_fma_f64 v[104:105], v[104:105], v[36:37], -v[120:121]
	v_fma_f64 v[106:107], v[106:107], v[36:37], v[122:123]
	v_fma_f64 v[74:75], v[74:75], v[20:21], v[124:125]
	v_add_f64_e32 v[120:121], v[112:113], v[114:115]
	v_add_f64_e32 v[122:123], v[13:14], v[116:117]
	v_fma_f64 v[72:73], v[72:73], v[20:21], -v[118:119]
	v_add_f64_e32 v[118:119], v[78:79], v[126:127]
	v_add_f64_e32 v[124:125], v[76:77], v[128:129]
	v_fma_f64 v[96:97], v[96:97], v[60:61], -v[130:131]
	v_fma_f64 v[98:99], v[98:99], v[60:61], v[132:133]
	v_fma_f64 v[100:101], v[100:101], v[56:57], -v[134:135]
	v_fma_f64 v[102:103], v[102:103], v[56:57], v[136:137]
	v_add_f64_e64 v[130:131], v[2:3], -v[4:5]
	v_add_f64_e64 v[132:133], v[0:1], -v[6:7]
	v_fma_f64 v[88:89], v[88:89], v[48:49], -v[142:143]
	v_fma_f64 v[90:91], v[90:91], v[48:49], v[144:145]
	v_fma_f64 v[92:93], v[92:93], v[40:41], -v[146:147]
	v_fma_f64 v[94:95], v[94:95], v[40:41], v[148:149]
	v_fma_f64 v[64:65], v[64:65], v[32:33], -v[150:151]
	v_fma_f64 v[52:53], v[52:53], v[28:29], -v[154:155]
	v_add_f64_e64 v[142:143], v[78:79], -v[126:127]
	v_add_f64_e64 v[144:145], v[76:77], -v[128:129]
	v_add_f64_e32 v[0:1], v[108:109], v[0:1]
	v_add_f64_e32 v[2:3], v[110:111], v[2:3]
	v_fma_f64 v[134:135], v[138:139], -0.5, v[110:111]
	v_fma_f64 v[136:137], v[140:141], -0.5, v[108:109]
	v_add_f64_e64 v[138:139], v[112:113], -v[114:115]
	v_add_f64_e64 v[140:141], v[13:14], -v[116:117]
	v_add_f64_e32 v[13:14], v[104:105], v[13:14]
	v_fma_f64 v[120:121], v[120:121], -0.5, v[106:107]
	v_fma_f64 v[122:123], v[122:123], -0.5, v[104:105]
	v_add_f64_e32 v[104:105], v[106:107], v[112:113]
	v_add_f64_e32 v[112:113], v[70:71], v[66:67]
	v_fma_f64 v[118:119], v[118:119], -0.5, v[74:75]
	v_fma_f64 v[124:125], v[124:125], -0.5, v[72:73]
	v_add_f64_e32 v[72:73], v[72:73], v[76:77]
	v_add_f64_e32 v[74:75], v[74:75], v[78:79]
	;; [unrolled: 1-line block ×4, first 2 shown]
	v_add_f64_e64 v[78:79], v[96:97], -v[100:101]
	v_add_f64_e32 v[108:109], v[80:81], v[88:89]
	v_add_f64_e32 v[110:111], v[82:83], v[90:91]
	;; [unrolled: 1-line block ×3, first 2 shown]
	s_wait_alu 0xfffe
	v_fma_f64 v[150:151], v[132:133], s[10:11], v[134:135]
	v_fma_f64 v[152:153], v[130:131], s[10:11], v[136:137]
	;; [unrolled: 1-line block ×4, first 2 shown]
	v_add_f64_e32 v[134:135], v[88:89], v[92:93]
	v_add_f64_e32 v[136:137], v[90:91], v[94:95]
	v_add_f64_e64 v[88:89], v[88:89], -v[92:93]
	v_add_f64_e32 v[13:14], v[13:14], v[116:117]
	v_fma_f64 v[154:155], v[140:141], s[10:11], v[120:121]
	v_fma_f64 v[156:157], v[138:139], s[10:11], v[122:123]
	;; [unrolled: 1-line block ×4, first 2 shown]
	v_add_f64_e32 v[138:139], v[64:65], v[52:53]
	v_add_f64_e32 v[140:141], v[66:67], v[54:55]
	v_fma_f64 v[158:159], v[144:145], s[10:11], v[118:119]
	v_fma_f64 v[160:161], v[142:143], s[10:11], v[124:125]
	;; [unrolled: 1-line block ×4, first 2 shown]
	v_add_f64_e32 v[142:143], v[84:85], v[96:97]
	v_add_f64_e64 v[144:145], v[98:99], -v[102:103]
	v_add_f64_e32 v[98:99], v[86:87], v[98:99]
	v_fma_f64 v[76:77], v[146:147], -0.5, v[84:85]
	v_fma_f64 v[84:85], v[148:149], -0.5, v[86:87]
	v_add_f64_e64 v[86:87], v[90:91], -v[94:95]
	v_add_f64_e64 v[66:67], v[66:67], -v[54:55]
	;; [unrolled: 1-line block ×3, first 2 shown]
	v_add_f64_e32 v[92:93], v[108:109], v[92:93]
	v_add_f64_e32 v[94:95], v[110:111], v[94:95]
	;; [unrolled: 1-line block ×3, first 2 shown]
	v_mul_f64_e32 v[90:91], s[6:7], v[150:151]
	v_mul_f64_e32 v[96:97], -0.5, v[152:153]
	v_mul_f64_e32 v[146:147], s[10:11], v[130:131]
	v_mul_f64_e32 v[148:149], -0.5, v[132:133]
	v_fma_f64 v[80:81], v[134:135], -0.5, v[80:81]
	v_fma_f64 v[82:83], v[136:137], -0.5, v[82:83]
	v_mul_f64_e32 v[134:135], s[6:7], v[154:155]
	v_mul_f64_e32 v[136:137], -0.5, v[156:157]
	v_mul_f64_e32 v[162:163], s[10:11], v[122:123]
	v_mul_f64_e32 v[164:165], -0.5, v[120:121]
	v_fma_f64 v[68:69], v[138:139], -0.5, v[68:69]
	v_fma_f64 v[70:71], v[140:141], -0.5, v[70:71]
	v_mul_f64_e32 v[138:139], s[6:7], v[158:159]
	v_mul_f64_e32 v[140:141], -0.5, v[160:161]
	v_mul_f64_e32 v[166:167], s[10:11], v[124:125]
	v_mul_f64_e32 v[168:169], -0.5, v[118:119]
	v_add_f64_e32 v[100:101], v[142:143], v[100:101]
	v_add_f64_e32 v[142:143], v[2:3], v[4:5]
	;; [unrolled: 1-line block ×8, first 2 shown]
	v_fma_f64 v[106:107], v[144:145], s[6:7], v[76:77]
	v_fma_f64 v[108:109], v[144:145], s[10:11], v[76:77]
	;; [unrolled: 1-line block ×4, first 2 shown]
	v_add_f64_e64 v[72:73], v[92:93], -v[13:14]
	v_add_f64_e64 v[74:75], v[94:95], -v[104:105]
	v_fma_f64 v[84:85], v[130:131], 0.5, v[90:91]
	v_fma_f64 v[90:91], v[132:133], s[6:7], v[96:97]
	v_fma_f64 v[96:97], v[150:151], 0.5, v[146:147]
	v_fma_f64 v[126:127], v[152:153], s[10:11], v[148:149]
	v_fma_f64 v[128:129], v[86:87], s[6:7], v[80:81]
	;; [unrolled: 1-line block ×5, first 2 shown]
	v_fma_f64 v[122:123], v[122:123], 0.5, v[134:135]
	v_fma_f64 v[120:121], v[120:121], s[6:7], v[136:137]
	v_fma_f64 v[134:135], v[154:155], 0.5, v[162:163]
	v_fma_f64 v[136:137], v[156:157], s[10:11], v[164:165]
	v_fma_f64 v[146:147], v[66:67], s[6:7], v[68:69]
	;; [unrolled: 1-line block ×5, first 2 shown]
	v_fma_f64 v[138:139], v[124:125], 0.5, v[138:139]
	v_fma_f64 v[118:119], v[118:119], s[6:7], v[140:141]
	v_fma_f64 v[140:141], v[158:159], 0.5, v[166:167]
	v_fma_f64 v[154:155], v[160:161], s[10:11], v[168:169]
	v_add_f64_e32 v[54:55], v[98:99], v[142:143]
	v_add_f64_e32 v[52:53], v[100:101], v[102:103]
	v_add_f64_e64 v[64:65], v[100:101], -v[102:103]
	v_add_f64_e32 v[68:69], v[92:93], v[13:14]
	v_add_f64_e32 v[70:71], v[94:95], v[104:105]
	v_add_f64_e64 v[112:113], v[0:1], -v[2:3]
	v_add_f64_e64 v[114:115], v[4:5], -v[6:7]
	;; [unrolled: 1-line block ×3, first 2 shown]
	v_and_b32_e32 v13, 0xffff, v15
	s_load_b128 s[4:7], s[4:5], 0x0
	s_delay_alu instid0(VALU_DEP_1)
	v_mul_u32_u24_e32 v13, 0x66, v13
	v_add_f64_e32 v[76:77], v[106:107], v[84:85]
	v_add_f64_e32 v[80:81], v[108:109], v[90:91]
	;; [unrolled: 1-line block ×4, first 2 shown]
	v_add_f64_e64 v[84:85], v[106:107], -v[84:85]
	v_add_f64_e64 v[88:89], v[108:109], -v[90:91]
	;; [unrolled: 1-line block ×4, first 2 shown]
	v_add_nc_u32_e32 v10, v13, v10
	v_add_f64_e32 v[92:93], v[128:129], v[122:123]
	v_add_f64_e32 v[96:97], v[130:131], v[120:121]
	v_add_f64_e64 v[100:101], v[128:129], -v[122:123]
	v_add_f64_e64 v[104:105], v[130:131], -v[120:121]
	v_add_f64_e64 v[106:107], v[144:145], -v[136:137]
	v_add_f64_e32 v[94:95], v[132:133], v[134:135]
	v_add_f64_e32 v[98:99], v[144:145], v[136:137]
	v_add_f64_e64 v[102:103], v[132:133], -v[134:135]
	v_add_f64_e32 v[124:125], v[146:147], v[138:139]
	v_add_f64_e32 v[120:121], v[148:149], v[118:119]
	;; [unrolled: 1-line block ×4, first 2 shown]
	v_add_f64_e64 v[116:117], v[146:147], -v[138:139]
	v_add_f64_e64 v[16:17], v[148:149], -v[118:119]
	;; [unrolled: 1-line block ×4, first 2 shown]
	v_add_lshl_u32 v10, v212, v10, 4
	s_clause 0x1
	scratch_store_b128 off, v[36:39], off offset:28
	scratch_store_b128 off, v[16:19], off offset:12
	global_wb scope:SCOPE_SE
	s_wait_storecnt 0x0
	s_wait_kmcnt 0x0
	s_barrier_signal -1
	s_barrier_wait -1
	global_inv scope:SCOPE_SE
	ds_store_b128 v10, v[52:55]
	ds_store_b128 v10, v[76:79] offset:272
	ds_store_b128 v10, v[80:83] offset:544
	;; [unrolled: 1-line block ×4, first 2 shown]
	scratch_store_b32 off, v10, off offset:300 ; 4-byte Folded Spill
	ds_store_b128 v10, v[88:91] offset:1360
	ds_store_b128 v8, v[68:71]
	ds_store_b128 v8, v[92:95] offset:272
	ds_store_b128 v8, v[96:99] offset:544
	;; [unrolled: 1-line block ×4, first 2 shown]
	scratch_store_b32 off, v8, off offset:276 ; 4-byte Folded Spill
	ds_store_b128 v8, v[104:107] offset:1360
	s_and_saveexec_b32 s1, s0
	s_cbranch_execz .LBB0_11
; %bb.10:
	v_add_f64_e32 v[2:3], v[0:1], v[2:3]
	scratch_load_b32 v0, off, off offset:252 ; 4-byte Folded Reload
	v_add_f64_e32 v[4:5], v[4:5], v[6:7]
	s_wait_loadcnt 0x0
	v_add_lshl_u32 v0, v212, v0, 4
	ds_store_b128 v0, v[120:123] offset:20128
	ds_store_b128 v0, v[112:115] offset:20400
	;; [unrolled: 1-line block ×5, first 2 shown]
	scratch_load_b128 v[1:4], off, off offset:12 ; 16-byte Folded Reload
	s_wait_loadcnt 0x0
	ds_store_b128 v0, v[1:4] offset:20944
.LBB0_11:
	s_wait_alu 0xfffe
	s_or_b32 exec_lo, exec_lo, s1
	v_mad_co_u64_u32 v[108:109], null, 0xc0, v255, s[2:3]
	global_wb scope:SCOPE_SE
	s_wait_storecnt_dscnt 0x0
	s_barrier_signal -1
	s_barrier_wait -1
	global_inv scope:SCOPE_SE
	s_mov_b32 s26, 0x24c2f84
	s_mov_b32 s27, 0xbfe5384d
	s_clause 0x5
	global_load_b128 v[13:16], v[108:109], off offset:1360
	global_load_b128 v[17:20], v[108:109], off offset:1536
	;; [unrolled: 1-line block ×6, first 2 shown]
	ds_load_b128 v[0:3], v12 offset:1632
	ds_load_b128 v[4:7], v12 offset:19584
	ds_load_b128 v[132:135], v12
	ds_load_b128 v[8:11], v12 offset:3264
	ds_load_b128 v[92:95], v12 offset:4896
	;; [unrolled: 1-line block ×3, first 2 shown]
	s_mov_b32 s28, 0x42a4c3d2
	s_mov_b32 s30, 0x66966769
	;; [unrolled: 1-line block ×23, first 2 shown]
	s_wait_alu 0xfffe
	s_mov_b32 s38, s26
	s_mov_b32 s37, 0x3fefc445
	;; [unrolled: 1-line block ×5, first 2 shown]
	s_wait_loadcnt_dscnt 0x505
	v_mul_f64_e32 v[76:77], v[2:3], v[15:16]
	v_mul_f64_e32 v[78:79], v[0:1], v[15:16]
	scratch_store_b128 off, v[13:16], off offset:156 ; 16-byte Folded Spill
	s_wait_loadcnt 0x4
	scratch_store_b128 off, v[17:20], off offset:204 ; 16-byte Folded Spill
	s_wait_dscnt 0x4
	v_mul_f64_e32 v[100:101], v[4:5], v[19:20]
	v_mul_f64_e32 v[102:103], v[6:7], v[19:20]
	s_wait_loadcnt_dscnt 0x302
	v_mul_f64_e32 v[106:107], v[8:9], v[23:24]
	v_mul_f64_e32 v[104:105], v[10:11], v[23:24]
	scratch_store_b128 off, v[21:24], off offset:220 ; 16-byte Folded Spill
	s_wait_loadcnt 0x2
	scratch_store_b128 off, v[25:28], off offset:236 ; 16-byte Folded Spill
	s_wait_loadcnt 0x1
	;; [unrolled: 2-line block ×3, first 2 shown]
	scratch_store_b128 off, v[33:36], off offset:284 ; 16-byte Folded Spill
	v_fma_f64 v[144:145], v[0:1], v[13:14], -v[76:77]
	v_fma_f64 v[146:147], v[2:3], v[13:14], v[78:79]
	global_load_b128 v[13:16], v[108:109], off offset:1408
	v_fma_f64 v[0:1], v[6:7], v[17:18], v[100:101]
	v_fma_f64 v[2:3], v[4:5], v[17:18], -v[102:103]
	global_load_b128 v[17:20], v[108:109], off offset:1488
	v_fma_f64 v[78:79], v[10:11], v[21:22], v[106:107]
	s_wait_dscnt 0x1
	v_mul_f64_e32 v[10:11], v[92:93], v[31:32]
	ds_load_b128 v[100:103], v12 offset:16320
	s_wait_dscnt 0x1
	v_mul_f64_e32 v[4:5], v[96:97], v[27:28]
	v_mul_f64_e32 v[6:7], v[98:99], v[27:28]
	v_fma_f64 v[76:77], v[8:9], v[21:22], -v[104:105]
	v_mul_f64_e32 v[8:9], v[94:95], v[31:32]
	v_add_f64_e32 v[176:177], v[146:147], v[0:1]
	v_add_f64_e32 v[152:153], v[144:145], v[2:3]
	v_fma_f64 v[130:131], v[94:95], v[29:30], v[10:11]
	s_wait_dscnt 0x0
	v_mul_f64_e32 v[10:11], v[102:103], v[35:36]
	v_fma_f64 v[4:5], v[98:99], v[25:26], v[4:5]
	v_fma_f64 v[6:7], v[96:97], v[25:26], -v[6:7]
	ds_load_b128 v[96:99], v12 offset:6528
	ds_load_b128 v[104:107], v12 offset:8160
	v_fma_f64 v[128:129], v[92:93], v[29:30], -v[8:9]
	v_mul_f64_e32 v[8:9], v[100:101], v[35:36]
	v_fma_f64 v[10:11], v[100:101], v[33:34], -v[10:11]
	v_add_f64_e64 v[230:231], v[76:77], -v[6:7]
	s_delay_alu instid0(VALU_DEP_3) | instskip(NEXT) | instid1(VALU_DEP_3)
	v_fma_f64 v[8:9], v[102:103], v[33:34], v[8:9]
	v_add_f64_e64 v[242:243], v[128:129], -v[10:11]
	s_wait_alu 0xfffe
	s_delay_alu instid0(VALU_DEP_3) | instskip(NEXT) | instid1(VALU_DEP_3)
	v_mul_f64_e32 v[58:59], s[38:39], v[230:231]
	v_add_f64_e64 v[232:233], v[130:131], -v[8:9]
	s_delay_alu instid0(VALU_DEP_3)
	v_mul_f64_e32 v[36:37], s[34:35], v[242:243]
	v_mul_f64_e32 v[82:83], s[28:29], v[242:243]
	s_wait_loadcnt_dscnt 0x101
	v_mul_f64_e32 v[100:101], v[96:97], v[15:16]
	scratch_store_b128 off, v[13:16], off offset:308 ; 16-byte Folded Spill
	v_fma_f64 v[184:185], v[98:99], v[13:14], v[100:101]
	v_mul_f64_e32 v[98:99], v[98:99], v[15:16]
	v_mov_b32_e32 v15, v255
	s_delay_alu instid0(VALU_DEP_2)
	v_fma_f64 v[186:187], v[96:97], v[13:14], -v[98:99]
	ds_load_b128 v[96:99], v12 offset:14688
	ds_load_b128 v[136:139], v12 offset:13056
	s_wait_loadcnt 0x0
	scratch_store_b128 off, v[17:20], off offset:324 ; 16-byte Folded Spill
	v_add_f64_e32 v[13:14], v[132:133], v[144:145]
	s_wait_dscnt 0x1
	v_mul_f64_e32 v[100:101], v[96:97], v[19:20]
	s_delay_alu instid0(VALU_DEP_1) | instskip(SKIP_1) | instid1(VALU_DEP_2)
	v_fma_f64 v[172:173], v[98:99], v[17:18], v[100:101]
	v_mul_f64_e32 v[98:99], v[98:99], v[19:20]
	v_add_f64_e64 v[244:245], v[184:185], -v[172:173]
	s_delay_alu instid0(VALU_DEP_2)
	v_fma_f64 v[174:175], v[96:97], v[17:18], -v[98:99]
	s_clause 0x1
	global_load_b128 v[100:103], v[108:109], off offset:1424
	global_load_b128 v[96:99], v[108:109], off offset:1440
	v_add_f64_e32 v[248:249], v[184:185], v[172:173]
	v_mul_f64_e32 v[40:41], s[38:39], v[244:245]
	v_add_f64_e64 v[246:247], v[186:187], -v[174:175]
	v_mul_f64_e32 v[64:65], s[30:31], v[244:245]
	s_delay_alu instid0(VALU_DEP_2) | instskip(SKIP_1) | instid1(VALU_DEP_1)
	v_mul_f64_e32 v[250:251], s[22:23], v[246:247]
	v_mul_f64_e32 v[44:45], s[38:39], v[246:247]
	v_fma_f64 v[46:47], v[248:249], s[10:11], v[44:45]
	s_wait_loadcnt 0x1
	v_mul_f64_e32 v[110:111], v[106:107], v[102:103]
	s_delay_alu instid0(VALU_DEP_1) | instskip(SKIP_1) | instid1(VALU_DEP_1)
	v_fma_f64 v[188:189], v[104:105], v[100:101], -v[110:111]
	v_mul_f64_e32 v[104:105], v[104:105], v[102:103]
	v_fma_f64 v[190:191], v[106:107], v[100:101], v[104:105]
	ds_load_b128 v[104:107], v12 offset:9792
	ds_load_b128 v[140:143], v12 offset:11424
	s_wait_loadcnt_dscnt 0x1
	v_mul_f64_e32 v[110:111], v[106:107], v[98:99]
	s_delay_alu instid0(VALU_DEP_1) | instskip(SKIP_1) | instid1(VALU_DEP_1)
	v_fma_f64 v[192:193], v[104:105], v[96:97], -v[110:111]
	v_mul_f64_e32 v[104:105], v[104:105], v[98:99]
	v_fma_f64 v[194:195], v[106:107], v[96:97], v[104:105]
	s_clause 0x1
	global_load_b128 v[104:107], v[108:109], off offset:1456
	global_load_b128 v[108:111], v[108:109], off offset:1472
	scratch_store_b64 off, v[13:14], off offset:340 ; 8-byte Folded Spill
	v_add_f64_e32 v[13:14], v[134:135], v[146:147]
	scratch_store_b64 off, v[13:14], off offset:348 ; 8-byte Folded Spill
	s_wait_loadcnt_dscnt 0x100
	v_mul_f64_e32 v[148:149], v[142:143], v[106:107]
	s_delay_alu instid0(VALU_DEP_1) | instskip(SKIP_1) | instid1(VALU_DEP_2)
	v_fma_f64 v[196:197], v[140:141], v[104:105], -v[148:149]
	v_mul_f64_e32 v[140:141], v[140:141], v[106:107]
	v_add_f64_e32 v[26:27], v[192:193], v[196:197]
	s_delay_alu instid0(VALU_DEP_2) | instskip(SKIP_2) | instid1(VALU_DEP_2)
	v_fma_f64 v[198:199], v[142:143], v[104:105], v[140:141]
	s_wait_loadcnt 0x0
	v_mul_f64_e32 v[140:141], v[138:139], v[110:111]
	v_add_f64_e64 v[24:25], v[194:195], -v[198:199]
	s_delay_alu instid0(VALU_DEP_2) | instskip(SKIP_2) | instid1(VALU_DEP_4)
	v_fma_f64 v[200:201], v[136:137], v[108:109], -v[140:141]
	v_mul_f64_e32 v[136:137], v[136:137], v[110:111]
	v_add_f64_e32 v[32:33], v[194:195], v[198:199]
	v_mul_f64_e32 v[28:29], s[34:35], v[24:25]
	s_delay_alu instid0(VALU_DEP_4) | instskip(NEXT) | instid1(VALU_DEP_4)
	v_add_f64_e32 v[16:17], v[188:189], v[200:201]
	v_fma_f64 v[202:203], v[138:139], v[108:109], v[136:137]
	v_add_f64_e64 v[136:137], v[146:147], -v[0:1]
	v_mul_f64_e32 v[92:93], s[22:23], v[24:25]
	v_fma_f64 v[30:31], v[26:27], s[2:3], v[28:29]
	s_delay_alu instid0(VALU_DEP_4) | instskip(NEXT) | instid1(VALU_DEP_4)
	v_add_f64_e64 v[252:253], v[190:191], -v[202:203]
	v_mul_f64_e32 v[150:151], s[26:27], v[136:137]
	v_mul_f64_e32 v[138:139], s[24:25], v[136:137]
	;; [unrolled: 1-line block ×6, first 2 shown]
	v_add_f64_e32 v[254:255], v[190:191], v[202:203]
	v_fma_f64 v[94:95], v[26:27], s[14:15], -v[92:93]
	v_mul_f64_e32 v[18:19], s[26:27], v[252:253]
	v_fma_f64 v[162:163], v[152:153], s[10:11], -v[150:151]
	v_fma_f64 v[208:209], v[152:153], s[10:11], v[150:151]
	v_add_f64_e64 v[150:151], v[144:145], -v[2:3]
	v_fma_f64 v[154:155], v[152:153], s[20:21], -v[138:139]
	v_fma_f64 v[138:139], v[152:153], s[20:21], v[138:139]
	v_fma_f64 v[156:157], v[152:153], s[16:17], -v[140:141]
	v_fma_f64 v[140:141], v[152:153], s[16:17], v[140:141]
	;; [unrolled: 2-line block ×5, first 2 shown]
	v_mul_f64_e32 v[152:153], s[24:25], v[150:151]
	v_add_f64_e32 v[13:14], v[132:133], v[154:155]
	v_mul_f64_e32 v[164:165], s[28:29], v[150:151]
	v_mul_f64_e32 v[170:171], s[26:27], v[150:151]
	;; [unrolled: 1-line block ×5, first 2 shown]
	v_add_f64_e32 v[138:139], v[132:133], v[138:139]
	v_add_f64_e32 v[234:235], v[132:133], v[156:157]
	;; [unrolled: 1-line block ×6, first 2 shown]
	s_mov_b32 s25, 0x3fddbe06
	s_wait_alu 0xfffe
	v_mul_f64_e32 v[60:61], s[24:25], v[232:233]
	v_mul_f64_e32 v[88:89], s[24:25], v[252:253]
	v_fma_f64 v[178:179], v[176:177], s[20:21], v[152:153]
	scratch_store_b64 off, v[13:14], off offset:356 ; 8-byte Folded Spill
	v_fma_f64 v[212:213], v[176:177], s[16:17], -v[164:165]
	v_fma_f64 v[220:221], v[176:177], s[10:11], v[170:171]
	v_fma_f64 v[222:223], v[176:177], s[10:11], -v[170:171]
	v_add_f64_e32 v[170:171], v[132:133], v[148:149]
	v_fma_f64 v[214:215], v[176:177], s[18:19], v[166:167]
	v_fma_f64 v[216:217], v[176:177], s[18:19], -v[166:167]
	v_fma_f64 v[218:219], v[176:177], s[14:15], v[168:169]
	v_fma_f64 v[224:225], v[176:177], s[2:3], v[150:151]
	v_fma_f64 v[226:227], v[176:177], s[2:3], -v[150:151]
	v_add_f64_e32 v[150:151], v[132:133], v[162:163]
	v_add_f64_e32 v[162:163], v[132:133], v[208:209]
	;; [unrolled: 1-line block ×3, first 2 shown]
	v_fma_f64 v[152:153], v[176:177], s[20:21], -v[152:153]
	v_fma_f64 v[180:181], v[176:177], s[16:17], v[164:165]
	v_fma_f64 v[168:169], v[176:177], s[14:15], -v[168:169]
	v_fma_f64 v[90:91], v[16:17], s[20:21], -v[88:89]
	v_add_f64_e32 v[13:14], v[134:135], v[178:179]
	v_add_f64_e32 v[148:149], v[134:135], v[220:221]
	v_add_f64_e64 v[220:221], v[78:79], -v[4:5]
	v_add_f64_e32 v[160:161], v[134:135], v[222:223]
	v_add_f64_e32 v[240:241], v[134:135], v[214:215]
	v_mul_f64_e32 v[214:215], s[28:29], v[230:231]
	v_add_f64_e32 v[144:145], v[134:135], v[218:219]
	v_mul_f64_e32 v[218:219], s[30:31], v[232:233]
	v_add_f64_e32 v[156:157], v[134:135], v[226:227]
	v_add_f64_e32 v[222:223], v[130:131], v[8:9]
	;; [unrolled: 1-line block ×7, first 2 shown]
	v_mul_f64_e32 v[224:225], s[30:31], v[242:243]
	scratch_store_b64 off, v[13:14], off offset:364 ; 8-byte Folded Spill
	v_add_f64_e32 v[13:14], v[132:133], v[140:141]
	v_mul_f64_e32 v[210:211], s[28:29], v[220:221]
	v_fma_f64 v[38:39], v[222:223], s[2:3], v[36:37]
	v_fma_f64 v[42:43], v[226:227], s[10:11], -v[40:41]
	v_fma_f64 v[66:67], v[226:227], s[18:19], -v[64:65]
	scratch_store_b64 off, v[13:14], off offset:380 ; 8-byte Folded Spill
	v_add_f64_e32 v[13:14], v[134:135], v[212:213]
	v_add_f64_e32 v[212:213], v[78:79], v[4:5]
	scratch_store_b64 off, v[13:14], off offset:372 ; 8-byte Folded Spill
	v_add_f64_e32 v[13:14], v[132:133], v[142:143]
	v_fma_f64 v[132:133], v[208:209], s[16:17], v[210:211]
	scratch_store_b64 off, v[13:14], off offset:396 ; 8-byte Folded Spill
	v_add_f64_e32 v[13:14], v[134:135], v[216:217]
	v_add_f64_e32 v[216:217], v[128:129], v[10:11]
	;; [unrolled: 1-line block ×3, first 2 shown]
	v_fma_f64 v[134:135], v[212:213], s[16:17], -v[214:215]
	scratch_store_b64 off, v[13:14], off offset:388 ; 8-byte Folded Spill
	v_fma_f64 v[136:137], v[216:217], s[18:19], v[218:219]
	v_add_f64_e64 v[13:14], v[188:189], -v[200:201]
	v_add_f64_e32 v[134:135], v[134:135], v[228:229]
	v_mul_f64_e32 v[228:229], s[22:23], v[244:245]
	v_fma_f64 v[62:63], v[216:217], s[20:21], -v[60:61]
	v_add_f64_e32 v[132:133], v[136:137], v[132:133]
	v_fma_f64 v[136:137], v[222:223], s[18:19], -v[224:225]
	v_mul_f64_e32 v[20:21], s[26:27], v[13:14]
	v_mul_f64_e32 v[48:49], s[36:37], v[13:14]
	s_delay_alu instid0(VALU_DEP_3) | instskip(SKIP_1) | instid1(VALU_DEP_4)
	v_add_f64_e32 v[134:135], v[136:137], v[134:135]
	v_fma_f64 v[136:137], v[226:227], s[14:15], v[228:229]
	v_fma_f64 v[22:23], v[254:255], s[10:11], -v[20:21]
	s_delay_alu instid0(VALU_DEP_4) | instskip(NEXT) | instid1(VALU_DEP_3)
	v_fma_f64 v[50:51], v[254:255], s[18:19], v[48:49]
	v_add_f64_e32 v[132:133], v[136:137], v[132:133]
	v_fma_f64 v[136:137], v[248:249], s[14:15], -v[250:251]
	s_delay_alu instid0(VALU_DEP_1) | instskip(SKIP_1) | instid1(VALU_DEP_2)
	v_add_f64_e32 v[134:135], v[136:137], v[134:135]
	v_fma_f64 v[136:137], v[16:17], s[10:11], v[18:19]
	v_add_f64_e32 v[22:23], v[22:23], v[134:135]
	s_delay_alu instid0(VALU_DEP_2) | instskip(NEXT) | instid1(VALU_DEP_1)
	v_add_f64_e32 v[132:133], v[136:137], v[132:133]
	v_add_f64_e32 v[140:141], v[30:31], v[132:133]
	v_add_f64_e64 v[30:31], v[192:193], -v[196:197]
	s_delay_alu instid0(VALU_DEP_1) | instskip(NEXT) | instid1(VALU_DEP_1)
	v_mul_f64_e32 v[34:35], s[34:35], v[30:31]
	v_fma_f64 v[132:133], v[32:33], s[2:3], -v[34:35]
	s_delay_alu instid0(VALU_DEP_1) | instskip(SKIP_1) | instid1(VALU_DEP_1)
	v_add_f64_e32 v[142:143], v[132:133], v[22:23]
	v_mul_f64_e32 v[22:23], s[22:23], v[220:221]
	v_fma_f64 v[132:133], v[208:209], s[14:15], -v[22:23]
	s_delay_alu instid0(VALU_DEP_1) | instskip(SKIP_1) | instid1(VALU_DEP_1)
	v_add_f64_e32 v[132:133], v[132:133], v[234:235]
	v_mul_f64_e32 v[234:235], s[22:23], v[230:231]
	v_fma_f64 v[134:135], v[212:213], s[14:15], v[234:235]
	s_delay_alu instid0(VALU_DEP_1) | instskip(SKIP_1) | instid1(VALU_DEP_2)
	v_add_f64_e32 v[134:135], v[134:135], v[236:237]
	v_mul_f64_e32 v[236:237], s[34:35], v[232:233]
	v_add_f64_e32 v[38:39], v[38:39], v[134:135]
	s_delay_alu instid0(VALU_DEP_2) | instskip(NEXT) | instid1(VALU_DEP_2)
	v_fma_f64 v[136:137], v[216:217], s[2:3], -v[236:237]
	v_add_f64_e32 v[38:39], v[46:47], v[38:39]
	s_delay_alu instid0(VALU_DEP_2) | instskip(SKIP_1) | instid1(VALU_DEP_3)
	v_add_f64_e32 v[132:133], v[136:137], v[132:133]
	v_mul_f64_e32 v[46:47], s[36:37], v[252:253]
	v_add_f64_e32 v[38:39], v[50:51], v[38:39]
	s_delay_alu instid0(VALU_DEP_3) | instskip(NEXT) | instid1(VALU_DEP_3)
	v_add_f64_e32 v[42:43], v[42:43], v[132:133]
	v_fma_f64 v[132:133], v[16:17], s[18:19], -v[46:47]
	v_mul_f64_e32 v[50:51], s[24:25], v[24:25]
	s_delay_alu instid0(VALU_DEP_2) | instskip(NEXT) | instid1(VALU_DEP_2)
	v_add_f64_e32 v[42:43], v[132:133], v[42:43]
	v_fma_f64 v[132:133], v[26:27], s[20:21], -v[50:51]
	s_delay_alu instid0(VALU_DEP_1) | instskip(SKIP_1) | instid1(VALU_DEP_1)
	v_add_f64_e32 v[132:133], v[132:133], v[42:43]
	v_mul_f64_e32 v[42:43], s[24:25], v[30:31]
	v_fma_f64 v[134:135], v[32:33], s[20:21], v[42:43]
	s_delay_alu instid0(VALU_DEP_1) | instskip(SKIP_1) | instid1(VALU_DEP_1)
	v_add_f64_e32 v[134:135], v[134:135], v[38:39]
	v_mul_f64_e32 v[38:39], s[34:35], v[220:221]
	v_fma_f64 v[136:137], v[208:209], s[2:3], -v[38:39]
	s_delay_alu instid0(VALU_DEP_1)
	v_add_f64_e32 v[136:137], v[136:137], v[238:239]
	v_mul_f64_e32 v[238:239], s[34:35], v[230:231]
	s_mov_b32 s35, 0x3fcea1e5
	s_wait_alu 0xfffe
	v_mul_f64_e32 v[68:69], s[34:35], v[252:253]
	v_mul_f64_e32 v[84:85], s[34:35], v[244:245]
	s_delay_alu instid0(VALU_DEP_3) | instskip(NEXT) | instid1(VALU_DEP_3)
	v_fma_f64 v[138:139], v[212:213], s[2:3], v[238:239]
	v_fma_f64 v[70:71], v[16:17], s[2:3], -v[68:69]
	s_delay_alu instid0(VALU_DEP_3) | instskip(NEXT) | instid1(VALU_DEP_3)
	v_fma_f64 v[86:87], v[226:227], s[2:3], -v[84:85]
	v_add_f64_e32 v[138:139], v[138:139], v[240:241]
	v_mul_f64_e32 v[240:241], s[40:41], v[232:233]
	s_delay_alu instid0(VALU_DEP_1) | instskip(NEXT) | instid1(VALU_DEP_1)
	v_fma_f64 v[204:205], v[216:217], s[14:15], -v[240:241]
	v_add_f64_e32 v[136:137], v[204:205], v[136:137]
	v_mul_f64_e32 v[204:205], s[40:41], v[242:243]
	s_delay_alu instid0(VALU_DEP_1) | instskip(NEXT) | instid1(VALU_DEP_1)
	v_fma_f64 v[206:207], v[222:223], s[14:15], v[204:205]
	v_add_f64_e32 v[138:139], v[206:207], v[138:139]
	v_mul_f64_e32 v[206:207], s[24:25], v[244:245]
	s_delay_alu instid0(VALU_DEP_1) | instskip(NEXT) | instid1(VALU_DEP_1)
	v_fma_f64 v[164:165], v[226:227], s[20:21], -v[206:207]
	v_add_f64_e32 v[136:137], v[164:165], v[136:137]
	v_mul_f64_e32 v[164:165], s[24:25], v[246:247]
	s_delay_alu instid0(VALU_DEP_1) | instskip(NEXT) | instid1(VALU_DEP_1)
	v_fma_f64 v[166:167], v[248:249], s[20:21], v[164:165]
	;; [unrolled: 8-line block ×4, first 2 shown]
	v_add_f64_e32 v[138:139], v[54:55], v[138:139]
	v_mul_f64_e32 v[54:55], s[38:39], v[220:221]
	s_delay_alu instid0(VALU_DEP_1) | instskip(NEXT) | instid1(VALU_DEP_1)
	v_fma_f64 v[56:57], v[208:209], s[10:11], -v[54:55]
	v_add_f64_e32 v[56:57], v[56:57], v[146:147]
	v_fma_f64 v[146:147], v[212:213], s[10:11], v[58:59]
	s_delay_alu instid0(VALU_DEP_2) | instskip(SKIP_1) | instid1(VALU_DEP_3)
	v_add_f64_e32 v[56:57], v[62:63], v[56:57]
	v_mul_f64_e32 v[62:63], s[24:25], v[242:243]
	v_add_f64_e32 v[144:145], v[146:147], v[144:145]
	s_delay_alu instid0(VALU_DEP_3) | instskip(NEXT) | instid1(VALU_DEP_3)
	v_add_f64_e32 v[56:57], v[66:67], v[56:57]
	v_fma_f64 v[146:147], v[222:223], s[20:21], v[62:63]
	v_mul_f64_e32 v[66:67], s[30:31], v[246:247]
	s_mov_b32 s31, 0x3fea55e2
	s_mov_b32 s30, s28
	s_wait_alu 0xfffe
	v_mul_f64_e32 v[72:73], s[30:31], v[24:25]
	v_mul_f64_e32 v[24:25], s[36:37], v[24:25]
	v_add_f64_e32 v[56:57], v[70:71], v[56:57]
	v_add_f64_e32 v[144:145], v[146:147], v[144:145]
	v_fma_f64 v[146:147], v[248:249], s[18:19], v[66:67]
	v_mul_f64_e32 v[70:71], s[34:35], v[13:14]
	v_fma_f64 v[74:75], v[26:27], s[16:17], -v[72:73]
	s_delay_alu instid0(VALU_DEP_3) | instskip(NEXT) | instid1(VALU_DEP_3)
	v_add_f64_e32 v[144:145], v[146:147], v[144:145]
	v_fma_f64 v[146:147], v[254:255], s[2:3], v[70:71]
	s_delay_alu instid0(VALU_DEP_1) | instskip(NEXT) | instid1(VALU_DEP_4)
	v_add_f64_e32 v[146:147], v[146:147], v[144:145]
	v_add_f64_e32 v[144:145], v[74:75], v[56:57]
	v_mul_f64_e32 v[56:57], s[30:31], v[30:31]
	s_delay_alu instid0(VALU_DEP_1) | instskip(NEXT) | instid1(VALU_DEP_1)
	v_fma_f64 v[74:75], v[32:33], s[16:17], v[56:57]
	v_add_f64_e32 v[146:147], v[74:75], v[146:147]
	v_mul_f64_e32 v[74:75], s[36:37], v[220:221]
	s_delay_alu instid0(VALU_DEP_1) | instskip(NEXT) | instid1(VALU_DEP_1)
	v_fma_f64 v[176:177], v[208:209], s[18:19], -v[74:75]
	v_add_f64_e32 v[150:151], v[176:177], v[150:151]
	v_mul_f64_e32 v[176:177], s[36:37], v[230:231]
	s_delay_alu instid0(VALU_DEP_1) | instskip(NEXT) | instid1(VALU_DEP_1)
	v_fma_f64 v[178:179], v[212:213], s[18:19], v[176:177]
	v_add_f64_e32 v[148:149], v[178:179], v[148:149]
	v_mul_f64_e32 v[178:179], s[28:29], v[232:233]
	s_delay_alu instid0(VALU_DEP_1) | instskip(NEXT) | instid1(VALU_DEP_1)
	v_fma_f64 v[80:81], v[216:217], s[16:17], -v[178:179]
	v_add_f64_e32 v[80:81], v[80:81], v[150:151]
	v_fma_f64 v[150:151], v[222:223], s[16:17], v[82:83]
	s_delay_alu instid0(VALU_DEP_2) | instskip(SKIP_1) | instid1(VALU_DEP_3)
	v_add_f64_e32 v[80:81], v[86:87], v[80:81]
	v_mul_f64_e32 v[86:87], s[34:35], v[246:247]
	v_add_f64_e32 v[148:149], v[150:151], v[148:149]
	s_delay_alu instid0(VALU_DEP_3) | instskip(NEXT) | instid1(VALU_DEP_3)
	v_add_f64_e32 v[80:81], v[90:91], v[80:81]
	v_fma_f64 v[150:151], v[248:249], s[2:3], v[86:87]
	v_mul_f64_e32 v[90:91], s[24:25], v[13:14]
	v_mul_f64_e32 v[13:14], s[22:23], v[13:14]
	s_delay_alu instid0(VALU_DEP_3) | instskip(NEXT) | instid1(VALU_DEP_3)
	v_add_f64_e32 v[148:149], v[150:151], v[148:149]
	v_fma_f64 v[150:151], v[254:255], s[20:21], v[90:91]
	s_delay_alu instid0(VALU_DEP_1) | instskip(SKIP_3) | instid1(VALU_DEP_2)
	v_add_f64_e32 v[150:151], v[150:151], v[148:149]
	v_add_f64_e32 v[148:149], v[94:95], v[80:81]
	v_mul_f64_e32 v[80:81], s[22:23], v[30:31]
	v_mul_f64_e32 v[30:31], s[36:37], v[30:31]
	v_fma_f64 v[94:95], v[32:33], s[14:15], v[80:81]
	s_delay_alu instid0(VALU_DEP_1) | instskip(SKIP_1) | instid1(VALU_DEP_1)
	v_add_f64_e32 v[150:151], v[94:95], v[150:151]
	v_mul_f64_e32 v[94:95], s[24:25], v[220:221]
	v_fma_f64 v[220:221], v[208:209], s[20:21], -v[94:95]
	v_fma_f64 v[94:95], v[208:209], s[20:21], v[94:95]
	s_delay_alu instid0(VALU_DEP_2) | instskip(SKIP_1) | instid1(VALU_DEP_3)
	v_add_f64_e32 v[154:155], v[220:221], v[154:155]
	v_mul_f64_e32 v[220:221], s[24:25], v[230:231]
	v_add_f64_e32 v[94:95], v[94:95], v[158:159]
	s_delay_alu instid0(VALU_DEP_2) | instskip(SKIP_1) | instid1(VALU_DEP_2)
	v_fma_f64 v[230:231], v[212:213], s[20:21], v[220:221]
	v_fma_f64 v[158:159], v[212:213], s[20:21], -v[220:221]
	v_add_f64_e32 v[152:153], v[230:231], v[152:153]
	v_mul_f64_e32 v[230:231], s[26:27], v[232:233]
	s_delay_alu instid0(VALU_DEP_3) | instskip(NEXT) | instid1(VALU_DEP_2)
	v_add_f64_e32 v[156:157], v[158:159], v[156:157]
	v_fma_f64 v[232:233], v[216:217], s[10:11], -v[230:231]
	v_fma_f64 v[158:159], v[216:217], s[10:11], v[230:231]
	s_delay_alu instid0(VALU_DEP_2) | instskip(SKIP_1) | instid1(VALU_DEP_3)
	v_add_f64_e32 v[154:155], v[232:233], v[154:155]
	v_mul_f64_e32 v[232:233], s[26:27], v[242:243]
	v_add_f64_e32 v[94:95], v[158:159], v[94:95]
	s_delay_alu instid0(VALU_DEP_2) | instskip(SKIP_1) | instid1(VALU_DEP_2)
	v_fma_f64 v[242:243], v[222:223], s[10:11], v[232:233]
	v_fma_f64 v[158:159], v[222:223], s[10:11], -v[232:233]
	v_add_f64_e32 v[152:153], v[242:243], v[152:153]
	v_mul_f64_e32 v[242:243], s[30:31], v[244:245]
	s_delay_alu instid0(VALU_DEP_3) | instskip(NEXT) | instid1(VALU_DEP_2)
	v_add_f64_e32 v[156:157], v[158:159], v[156:157]
	;; [unrolled: 13-line block ×3, first 2 shown]
	v_fma_f64 v[252:253], v[16:17], s[14:15], -v[246:247]
	v_fma_f64 v[158:159], v[16:17], s[14:15], v[246:247]
	s_delay_alu instid0(VALU_DEP_2) | instskip(SKIP_2) | instid1(VALU_DEP_4)
	v_add_f64_e32 v[154:155], v[252:253], v[154:155]
	v_fma_f64 v[252:253], v[254:255], s[14:15], v[13:14]
	v_fma_f64 v[13:14], v[254:255], s[14:15], -v[13:14]
	v_add_f64_e32 v[94:95], v[158:159], v[94:95]
	s_delay_alu instid0(VALU_DEP_3) | instskip(SKIP_1) | instid1(VALU_DEP_4)
	v_add_f64_e32 v[252:253], v[252:253], v[152:153]
	v_fma_f64 v[152:153], v[26:27], s[18:19], -v[24:25]
	v_add_f64_e32 v[13:14], v[13:14], v[156:157]
	v_fma_f64 v[24:25], v[26:27], s[18:19], v[24:25]
	s_delay_alu instid0(VALU_DEP_3) | instskip(SKIP_2) | instid1(VALU_DEP_4)
	v_add_f64_e32 v[152:153], v[152:153], v[154:155]
	v_fma_f64 v[154:155], v[32:33], s[18:19], v[30:31]
	v_fma_f64 v[30:31], v[32:33], s[18:19], -v[30:31]
	v_add_f64_e32 v[156:157], v[24:25], v[94:95]
	v_fma_f64 v[24:25], v[212:213], s[18:19], -v[176:177]
	s_delay_alu instid0(VALU_DEP_4) | instskip(NEXT) | instid1(VALU_DEP_4)
	v_add_f64_e32 v[154:155], v[154:155], v[252:253]
	v_add_f64_e32 v[158:159], v[30:31], v[13:14]
	v_fma_f64 v[13:14], v[208:209], s[18:19], v[74:75]
	v_fma_f64 v[30:31], v[216:217], s[16:17], v[178:179]
	v_add_f64_e32 v[24:25], v[24:25], v[160:161]
	v_fma_f64 v[74:75], v[32:33], s[14:15], -v[80:81]
	s_delay_alu instid0(VALU_DEP_4) | instskip(NEXT) | instid1(VALU_DEP_1)
	v_add_f64_e32 v[13:14], v[13:14], v[162:163]
	v_add_f64_e32 v[13:14], v[30:31], v[13:14]
	v_fma_f64 v[30:31], v[222:223], s[16:17], -v[82:83]
	s_delay_alu instid0(VALU_DEP_1) | instskip(SKIP_1) | instid1(VALU_DEP_1)
	v_add_f64_e32 v[24:25], v[30:31], v[24:25]
	v_fma_f64 v[30:31], v[226:227], s[2:3], v[84:85]
	v_add_f64_e32 v[13:14], v[30:31], v[13:14]
	v_fma_f64 v[30:31], v[248:249], s[2:3], -v[86:87]
	s_delay_alu instid0(VALU_DEP_1) | instskip(SKIP_1) | instid1(VALU_DEP_1)
	v_add_f64_e32 v[24:25], v[30:31], v[24:25]
	v_fma_f64 v[30:31], v[16:17], s[20:21], v[88:89]
	v_add_f64_e32 v[13:14], v[30:31], v[13:14]
	v_fma_f64 v[30:31], v[254:255], s[20:21], -v[90:91]
	s_delay_alu instid0(VALU_DEP_1) | instskip(SKIP_1) | instid1(VALU_DEP_2)
	v_add_f64_e32 v[24:25], v[30:31], v[24:25]
	v_fma_f64 v[30:31], v[26:27], s[14:15], v[92:93]
	v_add_f64_e32 v[162:163], v[74:75], v[24:25]
	s_delay_alu instid0(VALU_DEP_2) | instskip(SKIP_4) | instid1(VALU_DEP_4)
	v_add_f64_e32 v[160:161], v[30:31], v[13:14]
	v_fma_f64 v[13:14], v[208:209], s[10:11], v[54:55]
	v_fma_f64 v[24:25], v[212:213], s[10:11], -v[58:59]
	v_fma_f64 v[30:31], v[216:217], s[20:21], v[60:61]
	v_fma_f64 v[54:55], v[32:33], s[16:17], -v[56:57]
	v_add_f64_e32 v[13:14], v[13:14], v[170:171]
	s_delay_alu instid0(VALU_DEP_4) | instskip(NEXT) | instid1(VALU_DEP_2)
	v_add_f64_e32 v[24:25], v[24:25], v[168:169]
	v_add_f64_e32 v[13:14], v[30:31], v[13:14]
	v_fma_f64 v[30:31], v[222:223], s[20:21], -v[62:63]
	s_delay_alu instid0(VALU_DEP_1) | instskip(SKIP_1) | instid1(VALU_DEP_1)
	v_add_f64_e32 v[24:25], v[30:31], v[24:25]
	v_fma_f64 v[30:31], v[226:227], s[18:19], v[64:65]
	v_add_f64_e32 v[13:14], v[30:31], v[13:14]
	v_fma_f64 v[30:31], v[248:249], s[18:19], -v[66:67]
	s_delay_alu instid0(VALU_DEP_1) | instskip(SKIP_1) | instid1(VALU_DEP_1)
	v_add_f64_e32 v[24:25], v[30:31], v[24:25]
	v_fma_f64 v[30:31], v[16:17], s[2:3], v[68:69]
	v_add_f64_e32 v[13:14], v[30:31], v[13:14]
	v_fma_f64 v[30:31], v[254:255], s[2:3], -v[70:71]
	s_delay_alu instid0(VALU_DEP_1) | instskip(SKIP_1) | instid1(VALU_DEP_2)
	v_add_f64_e32 v[24:25], v[30:31], v[24:25]
	v_fma_f64 v[30:31], v[26:27], s[16:17], v[72:73]
	v_add_f64_e32 v[170:171], v[54:55], v[24:25]
	scratch_load_b64 v[24:25], off, off offset:396 th:TH_LOAD_LU ; 8-byte Folded Reload
	v_add_f64_e32 v[168:169], v[30:31], v[13:14]
	scratch_load_b64 v[30:31], off, off offset:388 th:TH_LOAD_LU ; 8-byte Folded Reload
	v_fma_f64 v[13:14], v[208:209], s[2:3], v[38:39]
	v_fma_f64 v[38:39], v[32:33], s[10:11], -v[52:53]
	s_wait_loadcnt 0x1
	s_delay_alu instid0(VALU_DEP_2) | instskip(SKIP_2) | instid1(VALU_DEP_1)
	v_add_f64_e32 v[13:14], v[13:14], v[24:25]
	v_fma_f64 v[24:25], v[212:213], s[2:3], -v[238:239]
	s_wait_loadcnt 0x0
	v_add_f64_e32 v[24:25], v[24:25], v[30:31]
	v_fma_f64 v[30:31], v[216:217], s[14:15], v[240:241]
	s_delay_alu instid0(VALU_DEP_1) | instskip(SKIP_1) | instid1(VALU_DEP_1)
	v_add_f64_e32 v[13:14], v[30:31], v[13:14]
	v_fma_f64 v[30:31], v[222:223], s[14:15], -v[204:205]
	v_add_f64_e32 v[24:25], v[30:31], v[24:25]
	v_fma_f64 v[30:31], v[226:227], s[20:21], v[206:207]
	s_delay_alu instid0(VALU_DEP_1) | instskip(SKIP_1) | instid1(VALU_DEP_1)
	v_add_f64_e32 v[13:14], v[30:31], v[13:14]
	v_fma_f64 v[30:31], v[248:249], s[20:21], -v[164:165]
	;; [unrolled: 5-line block ×3, first 2 shown]
	v_add_f64_e32 v[24:25], v[30:31], v[24:25]
	v_fma_f64 v[30:31], v[26:27], s[10:11], v[182:183]
	s_delay_alu instid0(VALU_DEP_2) | instskip(NEXT) | instid1(VALU_DEP_2)
	v_add_f64_e32 v[178:179], v[38:39], v[24:25]
	v_add_f64_e32 v[176:177], v[30:31], v[13:14]
	v_fma_f64 v[13:14], v[208:209], s[14:15], v[22:23]
	s_clause 0x1
	scratch_load_b64 v[22:23], off, off offset:380 th:TH_LOAD_LU
	scratch_load_b64 v[24:25], off, off offset:372 th:TH_LOAD_LU
	v_fma_f64 v[30:31], v[32:33], s[20:21], -v[42:43]
	v_fma_f64 v[38:39], v[248:249], s[14:15], v[250:251]
	s_wait_loadcnt 0x1
	v_add_f64_e32 v[13:14], v[13:14], v[22:23]
	v_fma_f64 v[22:23], v[212:213], s[14:15], -v[234:235]
	s_wait_loadcnt 0x0
	s_delay_alu instid0(VALU_DEP_1) | instskip(SKIP_1) | instid1(VALU_DEP_1)
	v_add_f64_e32 v[22:23], v[22:23], v[24:25]
	v_fma_f64 v[24:25], v[216:217], s[2:3], v[236:237]
	v_add_f64_e32 v[13:14], v[24:25], v[13:14]
	v_fma_f64 v[24:25], v[222:223], s[2:3], -v[36:37]
	scratch_load_b64 v[36:37], off, off offset:356 th:TH_LOAD_LU ; 8-byte Folded Reload
	v_add_f64_e32 v[22:23], v[24:25], v[22:23]
	v_fma_f64 v[24:25], v[226:227], s[10:11], v[40:41]
	s_delay_alu instid0(VALU_DEP_1) | instskip(SKIP_1) | instid1(VALU_DEP_1)
	v_add_f64_e32 v[13:14], v[24:25], v[13:14]
	v_fma_f64 v[24:25], v[248:249], s[10:11], -v[44:45]
	v_add_f64_e32 v[22:23], v[24:25], v[22:23]
	v_fma_f64 v[24:25], v[16:17], s[18:19], v[46:47]
	v_fma_f64 v[16:17], v[16:17], s[10:11], -v[18:19]
	v_fma_f64 v[18:19], v[254:255], s[10:11], v[20:21]
	s_delay_alu instid0(VALU_DEP_3) | instskip(SKIP_2) | instid1(VALU_DEP_2)
	v_add_f64_e32 v[13:14], v[24:25], v[13:14]
	v_fma_f64 v[24:25], v[254:255], s[18:19], -v[48:49]
	v_mov_b32_e32 v255, v15
	v_add_f64_e32 v[22:23], v[24:25], v[22:23]
	v_fma_f64 v[24:25], v[26:27], s[20:21], v[50:51]
	s_delay_alu instid0(VALU_DEP_2) | instskip(NEXT) | instid1(VALU_DEP_2)
	v_add_f64_e32 v[182:183], v[30:31], v[22:23]
	v_add_f64_e32 v[180:181], v[24:25], v[13:14]
	v_fma_f64 v[13:14], v[208:209], s[16:17], -v[210:211]
	v_fma_f64 v[22:23], v[212:213], s[16:17], v[214:215]
	v_fma_f64 v[24:25], v[216:217], s[18:19], -v[218:219]
	v_fma_f64 v[30:31], v[222:223], s[18:19], v[224:225]
	s_wait_loadcnt 0x0
	s_delay_alu instid0(VALU_DEP_4)
	v_add_f64_e32 v[13:14], v[13:14], v[36:37]
	scratch_load_b64 v[36:37], off, off offset:364 th:TH_LOAD_LU ; 8-byte Folded Reload
	v_add_f64_e32 v[13:14], v[24:25], v[13:14]
	v_fma_f64 v[24:25], v[32:33], s[2:3], v[34:35]
	s_wait_loadcnt 0x0
	v_add_f64_e32 v[22:23], v[22:23], v[36:37]
	v_fma_f64 v[36:37], v[226:227], s[14:15], -v[228:229]
	s_delay_alu instid0(VALU_DEP_2) | instskip(NEXT) | instid1(VALU_DEP_2)
	v_add_f64_e32 v[22:23], v[30:31], v[22:23]
	v_add_f64_e32 v[13:14], v[36:37], v[13:14]
	s_delay_alu instid0(VALU_DEP_2) | instskip(SKIP_1) | instid1(VALU_DEP_3)
	v_add_f64_e32 v[20:21], v[38:39], v[22:23]
	v_fma_f64 v[22:23], v[26:27], s[2:3], -v[28:29]
	v_add_f64_e32 v[13:14], v[16:17], v[13:14]
	s_delay_alu instid0(VALU_DEP_3) | instskip(NEXT) | instid1(VALU_DEP_2)
	v_add_f64_e32 v[16:17], v[18:19], v[20:21]
	v_add_f64_e32 v[164:165], v[22:23], v[13:14]
	scratch_load_b64 v[13:14], off, off offset:340 th:TH_LOAD_LU ; 8-byte Folded Reload
	v_add_f64_e32 v[166:167], v[24:25], v[16:17]
	scratch_load_b64 v[15:16], off, off offset:348 th:TH_LOAD_LU ; 8-byte Folded Reload
	s_wait_loadcnt 0x0
	v_add_f64_e32 v[16:17], v[15:16], v[78:79]
	s_delay_alu instid0(VALU_DEP_1) | instskip(NEXT) | instid1(VALU_DEP_1)
	v_add_f64_e32 v[16:17], v[16:17], v[130:131]
	v_add_f64_e32 v[16:17], v[16:17], v[184:185]
	s_delay_alu instid0(VALU_DEP_1) | instskip(NEXT) | instid1(VALU_DEP_1)
	v_add_f64_e32 v[16:17], v[16:17], v[190:191]
	v_add_f64_e32 v[16:17], v[16:17], v[194:195]
	s_delay_alu instid0(VALU_DEP_1) | instskip(NEXT) | instid1(VALU_DEP_1)
	v_add_f64_e32 v[16:17], v[16:17], v[198:199]
	v_add_f64_e32 v[16:17], v[16:17], v[202:203]
	s_delay_alu instid0(VALU_DEP_1) | instskip(NEXT) | instid1(VALU_DEP_1)
	v_add_f64_e32 v[16:17], v[16:17], v[172:173]
	v_add_f64_e32 v[8:9], v[16:17], v[8:9]
	s_delay_alu instid0(VALU_DEP_1) | instskip(NEXT) | instid1(VALU_DEP_1)
	v_add_f64_e32 v[4:5], v[8:9], v[4:5]
	v_add_f64_e32 v[130:131], v[4:5], v[0:1]
	scratch_load_b32 v0, off, off offset:8  ; 4-byte Folded Reload
	v_add_f64_e32 v[13:14], v[13:14], v[76:77]
	s_delay_alu instid0(VALU_DEP_1) | instskip(NEXT) | instid1(VALU_DEP_1)
	v_add_f64_e32 v[13:14], v[13:14], v[128:129]
	v_add_f64_e32 v[13:14], v[13:14], v[186:187]
	s_delay_alu instid0(VALU_DEP_1) | instskip(NEXT) | instid1(VALU_DEP_1)
	v_add_f64_e32 v[13:14], v[13:14], v[188:189]
	;; [unrolled: 3-line block ×4, first 2 shown]
	v_add_f64_e32 v[10:11], v[13:14], v[10:11]
	s_wait_loadcnt 0x0
	v_lshl_add_u32 v200, v255, 4, v0
	s_delay_alu instid0(VALU_DEP_2) | instskip(NEXT) | instid1(VALU_DEP_1)
	v_add_f64_e32 v[6:7], v[10:11], v[6:7]
	v_add_f64_e32 v[128:129], v[6:7], v[2:3]
	ds_store_b128 v200, v[132:135] offset:3264
	ds_store_b128 v200, v[136:139] offset:4896
	;; [unrolled: 1-line block ×12, first 2 shown]
	ds_store_b128 v200, v[128:131]
	global_wb scope:SCOPE_SE
	s_wait_storecnt_dscnt 0x0
	s_barrier_signal -1
	s_barrier_wait -1
	global_inv scope:SCOPE_SE
	s_and_saveexec_b32 s1, vcc_lo
	s_cbranch_execz .LBB0_13
; %bb.12:
	v_lshlrev_b32_e32 v22, 4, v255
	s_add_nc_u64 s[2:3], s[8:9], 0x52e0
	s_clause 0xa
	global_load_b128 v[172:175], v22, s[8:9] offset:21216
	global_load_b128 v[184:187], v22, s[2:3] offset:1248
	;; [unrolled: 1-line block ×11, first 2 shown]
	ds_load_b128 v[209:212], v200
	ds_load_b128 v[213:216], v200 offset:1248
	ds_load_b128 v[217:220], v200 offset:2496
	global_load_b128 v[221:224], v22, s[2:3] offset:13728
	s_wait_loadcnt_dscnt 0xa01
	v_mul_f64_e32 v[18:19], v[215:216], v[186:187]
	v_mul_f64_e32 v[20:21], v[213:214], v[186:187]
	;; [unrolled: 1-line block ×4, first 2 shown]
	s_delay_alu instid0(VALU_DEP_4) | instskip(NEXT) | instid1(VALU_DEP_4)
	v_fma_f64 v[213:214], v[213:214], v[184:185], -v[18:19]
	v_fma_f64 v[215:216], v[215:216], v[184:185], v[20:21]
	ds_load_b128 v[184:187], v200 offset:4992
	v_fma_f64 v[209:210], v[209:210], v[172:173], -v[13:14]
	v_fma_f64 v[211:212], v[211:212], v[172:173], v[16:17]
	ds_load_b128 v[172:175], v200 offset:3744
	s_wait_loadcnt_dscnt 0x902
	v_mul_f64_e32 v[13:14], v[219:220], v[190:191]
	v_mul_f64_e32 v[16:17], v[217:218], v[190:191]
	s_wait_loadcnt_dscnt 0x800
	v_mul_f64_e32 v[18:19], v[174:175], v[194:195]
	v_mul_f64_e32 v[20:21], v[172:173], v[194:195]
	s_delay_alu instid0(VALU_DEP_4) | instskip(NEXT) | instid1(VALU_DEP_4)
	v_fma_f64 v[217:218], v[217:218], v[188:189], -v[13:14]
	v_fma_f64 v[219:220], v[219:220], v[188:189], v[16:17]
	ds_load_b128 v[188:191], v200 offset:6240
	s_wait_loadcnt 0x7
	v_mul_f64_e32 v[13:14], v[186:187], v[198:199]
	v_mul_f64_e32 v[16:17], v[184:185], v[198:199]
	v_fma_f64 v[172:173], v[172:173], v[192:193], -v[18:19]
	v_fma_f64 v[174:175], v[174:175], v[192:193], v[20:21]
	ds_load_b128 v[192:195], v200 offset:7488
	s_wait_loadcnt_dscnt 0x601
	v_mul_f64_e32 v[18:19], v[190:191], v[2:3]
	v_mul_f64_e32 v[2:3], v[188:189], v[2:3]
	v_fma_f64 v[184:185], v[184:185], v[196:197], -v[13:14]
	v_fma_f64 v[186:187], v[186:187], v[196:197], v[16:17]
	ds_load_b128 v[196:199], v200 offset:8736
	s_wait_loadcnt_dscnt 0x501
	;; [unrolled: 6-line block ×3, first 2 shown]
	v_mul_f64_e32 v[16:17], v[198:199], v[10:11]
	v_mul_f64_e32 v[10:11], v[196:197], v[10:11]
	v_fma_f64 v[192:193], v[192:193], v[4:5], -v[13:14]
	v_fma_f64 v[194:195], v[194:195], v[4:5], v[6:7]
	ds_load_b128 v[4:7], v200 offset:11232
	v_fma_f64 v[196:197], v[196:197], v[8:9], -v[16:17]
	v_fma_f64 v[198:199], v[198:199], v[8:9], v[10:11]
	s_wait_loadcnt_dscnt 0x301
	v_mul_f64_e32 v[8:9], v[2:3], v[78:79]
	v_mul_f64_e32 v[10:11], v[0:1], v[78:79]
	s_wait_loadcnt_dscnt 0x200
	v_mul_f64_e32 v[13:14], v[6:7], v[203:204]
	v_mul_f64_e32 v[16:17], v[4:5], v[203:204]
	s_delay_alu instid0(VALU_DEP_4) | instskip(NEXT) | instid1(VALU_DEP_4)
	v_fma_f64 v[0:1], v[0:1], v[76:77], -v[8:9]
	v_fma_f64 v[2:3], v[2:3], v[76:77], v[10:11]
	ds_load_b128 v[8:11], v200 offset:12480
	ds_load_b128 v[76:79], v200 offset:13728
	v_fma_f64 v[4:5], v[4:5], v[201:202], -v[13:14]
	v_fma_f64 v[6:7], v[6:7], v[201:202], v[16:17]
	global_load_b128 v[201:204], v22, s[2:3] offset:14976
	s_wait_loadcnt_dscnt 0x201
	v_mul_f64_e32 v[13:14], v[10:11], v[207:208]
	v_mul_f64_e32 v[16:17], v[8:9], v[207:208]
	s_delay_alu instid0(VALU_DEP_2) | instskip(NEXT) | instid1(VALU_DEP_2)
	v_fma_f64 v[8:9], v[8:9], v[205:206], -v[13:14]
	v_fma_f64 v[10:11], v[10:11], v[205:206], v[16:17]
	global_load_b128 v[205:208], v22, s[2:3] offset:16224
	s_wait_loadcnt_dscnt 0x200
	v_mul_f64_e32 v[13:14], v[78:79], v[223:224]
	v_mul_f64_e32 v[16:17], v[76:77], v[223:224]
	s_delay_alu instid0(VALU_DEP_2) | instskip(NEXT) | instid1(VALU_DEP_2)
	v_fma_f64 v[76:77], v[76:77], v[221:222], -v[13:14]
	v_fma_f64 v[78:79], v[78:79], v[221:222], v[16:17]
	ds_load_b128 v[221:224], v200 offset:14976
	ds_load_b128 v[225:228], v200 offset:16224
	s_wait_loadcnt_dscnt 0x101
	v_mul_f64_e32 v[13:14], v[223:224], v[203:204]
	v_mul_f64_e32 v[16:17], v[221:222], v[203:204]
	s_delay_alu instid0(VALU_DEP_2) | instskip(NEXT) | instid1(VALU_DEP_2)
	v_fma_f64 v[221:222], v[221:222], v[201:202], -v[13:14]
	v_fma_f64 v[223:224], v[223:224], v[201:202], v[16:17]
	s_wait_loadcnt_dscnt 0x0
	v_mul_f64_e32 v[13:14], v[227:228], v[207:208]
	v_mul_f64_e32 v[16:17], v[225:226], v[207:208]
	s_delay_alu instid0(VALU_DEP_2) | instskip(NEXT) | instid1(VALU_DEP_2)
	v_fma_f64 v[201:202], v[225:226], v[205:206], -v[13:14]
	v_fma_f64 v[203:204], v[227:228], v[205:206], v[16:17]
	s_clause 0x1
	global_load_b128 v[205:208], v22, s[2:3] offset:17472
	global_load_b128 v[225:228], v22, s[2:3] offset:18720
	ds_load_b128 v[229:232], v200 offset:17472
	ds_load_b128 v[233:236], v200 offset:18720
	s_wait_loadcnt_dscnt 0x101
	v_mul_f64_e32 v[13:14], v[231:232], v[207:208]
	v_mul_f64_e32 v[16:17], v[229:230], v[207:208]
	s_delay_alu instid0(VALU_DEP_2) | instskip(NEXT) | instid1(VALU_DEP_2)
	v_fma_f64 v[229:230], v[229:230], v[205:206], -v[13:14]
	v_fma_f64 v[231:232], v[231:232], v[205:206], v[16:17]
	s_wait_loadcnt_dscnt 0x0
	v_mul_f64_e32 v[13:14], v[235:236], v[227:228]
	v_mul_f64_e32 v[16:17], v[233:234], v[227:228]
	s_delay_alu instid0(VALU_DEP_2) | instskip(NEXT) | instid1(VALU_DEP_2)
	v_fma_f64 v[205:206], v[233:234], v[225:226], -v[13:14]
	v_fma_f64 v[207:208], v[235:236], v[225:226], v[16:17]
	global_load_b128 v[225:228], v22, s[2:3] offset:19968
	ds_load_b128 v[233:236], v200 offset:19968
	s_wait_loadcnt_dscnt 0x0
	v_mul_f64_e32 v[13:14], v[235:236], v[227:228]
	v_mul_f64_e32 v[16:17], v[233:234], v[227:228]
	s_delay_alu instid0(VALU_DEP_2) | instskip(NEXT) | instid1(VALU_DEP_2)
	v_fma_f64 v[233:234], v[233:234], v[225:226], -v[13:14]
	v_fma_f64 v[235:236], v[235:236], v[225:226], v[16:17]
	ds_store_b128 v200, v[209:212]
	ds_store_b128 v200, v[213:216] offset:1248
	ds_store_b128 v200, v[217:220] offset:2496
	;; [unrolled: 1-line block ×16, first 2 shown]
.LBB0_13:
	s_wait_alu 0xfffe
	s_or_b32 exec_lo, exec_lo, s1
	global_wb scope:SCOPE_SE
	s_wait_dscnt 0x0
	s_barrier_signal -1
	s_barrier_wait -1
	global_inv scope:SCOPE_SE
	s_and_saveexec_b32 s1, vcc_lo
	s_cbranch_execz .LBB0_15
; %bb.14:
	ds_load_b128 v[128:131], v200
	ds_load_b128 v[164:167], v200 offset:1248
	ds_load_b128 v[132:135], v200 offset:2496
	;; [unrolled: 1-line block ×16, first 2 shown]
.LBB0_15:
	s_wait_alu 0xfffe
	s_or_b32 exec_lo, exec_lo, s1
	s_wait_dscnt 0x0
	v_add_f64_e64 v[245:246], v[166:167], -v[118:119]
	s_mov_b32 s16, 0x5d8e7cdc
	s_mov_b32 s17, 0xbfd71e95
	v_add_f64_e32 v[241:242], v[164:165], v[116:117]
	v_add_f64_e64 v[215:216], v[134:135], -v[114:115]
	s_mov_b32 s2, 0x370991
	s_mov_b32 s14, 0x2a9d6da3
	;; [unrolled: 1-line block ×4, first 2 shown]
	v_add_f64_e32 v[201:202], v[132:133], v[112:113]
	s_mov_b32 s10, 0x75d4884
	s_mov_b32 s11, 0x3fe7a5f6
	v_add_f64_e32 v[4:5], v[166:167], v[118:119]
	v_add_f64_e32 v[213:214], v[134:135], v[114:115]
	v_add_f64_e64 v[209:210], v[132:133], -v[112:113]
	v_add_f64_e64 v[227:228], v[138:139], -v[122:123]
	s_mov_b32 s20, 0x7c9e640b
	s_mov_b32 s21, 0xbfeca52d
	v_add_f64_e32 v[205:206], v[136:137], v[120:121]
	v_add_f64_e32 v[225:226], v[138:139], v[122:123]
	s_mov_b32 s18, 0x2b2883cd
	s_mov_b32 s19, 0x3fdc86fa
	v_add_f64_e64 v[221:222], v[136:137], -v[120:121]
	v_add_f64_e64 v[237:238], v[146:147], -v[126:127]
	s_mov_b32 s24, 0xeb564b22
	s_mov_b32 s25, 0xbfefdd0d
	v_add_f64_e32 v[217:218], v[144:145], v[124:125]
	v_add_f64_e32 v[239:240], v[146:147], v[126:127]
	s_mov_b32 s22, 0x3259b75e
	s_mov_b32 s23, 0x3fb79ee6
	;; [unrolled: 8-line block ×3, first 2 shown]
	s_wait_alu 0xfffe
	v_mul_f64_e32 v[48:49], s[16:17], v[245:246]
	v_add_f64_e64 v[251:252], v[148:149], -v[140:141]
	v_add_f64_e64 v[253:254], v[154:155], -v[182:183]
	s_mov_b32 s34, 0x6c9a05f6
	v_mul_f64_e32 v[2:3], s[14:15], v[215:216]
	s_mov_b32 s35, 0xbfe9895b
	v_add_f64_e32 v[247:248], v[152:153], v[180:181]
	v_add_f64_e32 v[211:212], v[154:155], v[182:183]
	s_mov_b32 s30, 0x6ed5f1bb
	s_mov_b32 s31, 0xbfe348c8
	v_add_f64_e64 v[223:224], v[152:153], -v[180:181]
	v_add_f64_e64 v[76:77], v[158:159], -v[178:179]
	v_mul_f64_e32 v[44:45], s[2:3], v[4:5]
	v_mul_f64_e32 v[20:21], s[10:11], v[213:214]
	s_mov_b32 s44, 0x4363dd80
	v_mul_f64_e32 v[18:19], s[20:21], v[227:228]
	s_mov_b32 s45, 0x3fe0d888
	s_mov_b32 s39, 0xbfe0d888
	s_wait_alu 0xfffe
	s_mov_b32 s38, s44
	v_mul_f64_e32 v[24:25], s[18:19], v[225:226]
	v_add_f64_e32 v[207:208], v[156:157], v[176:177]
	v_add_f64_e32 v[243:244], v[158:159], v[178:179]
	s_mov_b32 s36, 0x910ea3b9
	v_mul_f64_e32 v[22:23], s[24:25], v[237:238]
	s_mov_b32 s37, 0xbfeb34fa
	v_add_f64_e64 v[249:250], v[156:157], -v[176:177]
	s_mov_b32 s42, 0xacd6c6b4
	v_mul_f64_e32 v[28:29], s[22:23], v[239:240]
	s_mov_b32 s43, 0xbfc7851a
	v_add_f64_e32 v[235:236], v[160:161], v[168:169]
	v_add_f64_e32 v[78:79], v[162:163], v[170:171]
	v_mul_f64_e32 v[26:27], s[28:29], v[203:204]
	s_mov_b32 s40, 0x7faef3
	s_mov_b32 s41, 0xbfef7484
	v_add_f64_e64 v[231:232], v[160:161], -v[168:169]
	v_mul_f64_e32 v[32:33], s[26:27], v[219:220]
	v_mul_f64_e32 v[92:93], s[24:25], v[215:216]
	;; [unrolled: 1-line block ×3, first 2 shown]
	v_fma_f64 v[0:1], v[241:242], s[2:3], -v[48:49]
	v_mul_f64_e32 v[46:47], s[34:35], v[227:228]
	v_mul_f64_e32 v[30:31], s[34:35], v[253:254]
	;; [unrolled: 1-line block ×3, first 2 shown]
	scratch_store_b64 off, v[2:3], off offset:708 ; 8-byte Folded Spill
	v_fma_f64 v[2:3], v[201:202], s[10:11], -v[2:3]
	s_wait_alu 0xfffe
	v_mul_f64_e32 v[50:51], s[42:43], v[237:238]
	v_mul_f64_e32 v[36:37], s[30:31], v[211:212]
	;; [unrolled: 1-line block ×6, first 2 shown]
	s_mov_b32 s49, 0x3feec746
	v_fma_f64 v[8:9], v[209:210], s[14:15], v[20:21]
	s_mov_b32 s48, s28
	s_mov_b32 s46, s20
	s_wait_alu 0xfffe
	v_mul_f64_e32 v[88:89], s[48:49], v[253:254]
	v_mul_f64_e32 v[54:55], s[46:47], v[76:77]
	s_mov_b32 s53, 0x3fd71e95
	s_mov_b32 s52, s16
	v_mul_f64_e32 v[52:53], s[34:35], v[215:216]
	v_mul_f64_e32 v[40:41], s[36:37], v[243:244]
	;; [unrolled: 1-line block ×4, first 2 shown]
	s_mov_b32 s57, 0x3fc7851a
	s_mov_b32 s56, s42
	v_mul_f64_e32 v[74:75], s[40:41], v[225:226]
	s_wait_alu 0xfffe
	v_mul_f64_e32 v[58:59], s[56:57], v[227:228]
	v_mul_f64_e32 v[60:61], s[48:49], v[237:238]
	s_mov_b32 s50, s14
	v_mul_f64_e32 v[42:43], s[40:41], v[78:79]
	v_mul_f64_e32 v[70:71], s[2:3], v[78:79]
	;; [unrolled: 1-line block ×5, first 2 shown]
	s_mov_b32 s59, 0x3fe9895b
	s_mov_b32 s58, s34
	;; [unrolled: 1-line block ×3, first 2 shown]
	v_add_f64_e32 v[0:1], v[128:129], v[0:1]
	s_mov_b32 s54, s24
	scratch_store_b64 off, v[15:16], off offset:532 ; 8-byte Folded Spill
	v_fma_f64 v[16:17], v[209:210], s[44:45], v[15:16]
	v_add_f64_e32 v[0:1], v[2:3], v[0:1]
	v_add_f64_e64 v[2:3], v[164:165], -v[116:117]
	s_delay_alu instid0(VALU_DEP_1) | instskip(NEXT) | instid1(VALU_DEP_1)
	v_fma_f64 v[6:7], v[2:3], s[16:17], v[44:45]
	v_add_f64_e32 v[6:7], v[130:131], v[6:7]
	s_delay_alu instid0(VALU_DEP_1) | instskip(SKIP_1) | instid1(VALU_DEP_1)
	v_add_f64_e32 v[6:7], v[8:9], v[6:7]
	v_fma_f64 v[8:9], v[205:206], s[18:19], -v[18:19]
	v_add_f64_e32 v[0:1], v[8:9], v[0:1]
	v_fma_f64 v[8:9], v[221:222], s[20:21], v[24:25]
	s_delay_alu instid0(VALU_DEP_1) | instskip(SKIP_1) | instid1(VALU_DEP_1)
	v_add_f64_e32 v[6:7], v[8:9], v[6:7]
	v_fma_f64 v[8:9], v[217:218], s[22:23], -v[22:23]
	v_add_f64_e32 v[0:1], v[8:9], v[0:1]
	v_fma_f64 v[8:9], v[233:234], s[24:25], v[28:29]
	;; [unrolled: 5-line block ×5, first 2 shown]
	s_delay_alu instid0(VALU_DEP_1) | instskip(SKIP_1) | instid1(VALU_DEP_1)
	v_add_f64_e32 v[6:7], v[0:1], v[6:7]
	v_add_f64_e64 v[0:1], v[162:163], -v[170:171]
	v_mul_f64_e32 v[38:39], s[42:43], v[0:1]
	v_mul_f64_e32 v[56:57], s[52:53], v[0:1]
	;; [unrolled: 1-line block ×3, first 2 shown]
	s_delay_alu instid0(VALU_DEP_3) | instskip(NEXT) | instid1(VALU_DEP_1)
	v_fma_f64 v[10:11], v[235:236], s[40:41], -v[38:39]
	v_add_f64_e32 v[172:173], v[10:11], v[8:9]
	v_fma_f64 v[8:9], v[231:232], s[42:43], v[42:43]
	v_fma_f64 v[10:11], v[209:210], s[24:25], v[86:87]
	s_delay_alu instid0(VALU_DEP_2) | instskip(SKIP_4) | instid1(VALU_DEP_1)
	v_add_f64_e32 v[174:175], v[8:9], v[6:7]
	v_mul_f64_e32 v[6:7], s[14:15], v[245:246]
	v_fma_f64 v[8:9], v[201:202], s[22:23], -v[92:93]
	scratch_store_b64 off, v[6:7], off offset:692 ; 8-byte Folded Spill
	v_fma_f64 v[6:7], v[241:242], s[10:11], -v[6:7]
	v_add_f64_e32 v[6:7], v[128:129], v[6:7]
	s_delay_alu instid0(VALU_DEP_1) | instskip(SKIP_3) | instid1(VALU_DEP_1)
	v_add_f64_e32 v[6:7], v[8:9], v[6:7]
	v_mul_f64_e32 v[8:9], s[10:11], v[4:5]
	scratch_store_b64 off, v[8:9], off offset:700 ; 8-byte Folded Spill
	v_fma_f64 v[8:9], v[2:3], s[14:15], v[8:9]
	v_add_f64_e32 v[8:9], v[130:131], v[8:9]
	s_delay_alu instid0(VALU_DEP_1) | instskip(SKIP_1) | instid1(VALU_DEP_1)
	v_add_f64_e32 v[8:9], v[10:11], v[8:9]
	v_fma_f64 v[10:11], v[205:206], s[30:31], -v[46:47]
	v_add_f64_e32 v[6:7], v[10:11], v[6:7]
	v_fma_f64 v[10:11], v[221:222], s[34:35], v[84:85]
	s_delay_alu instid0(VALU_DEP_1) | instskip(SKIP_1) | instid1(VALU_DEP_1)
	v_add_f64_e32 v[8:9], v[10:11], v[8:9]
	v_fma_f64 v[10:11], v[217:218], s[40:41], -v[50:51]
	v_add_f64_e32 v[6:7], v[10:11], v[6:7]
	v_fma_f64 v[10:11], v[233:234], s[42:43], v[82:83]
	;; [unrolled: 5-line block ×3, first 2 shown]
	s_delay_alu instid0(VALU_DEP_1) | instskip(SKIP_1) | instid1(VALU_DEP_1)
	v_add_f64_e32 v[8:9], v[10:11], v[8:9]
	v_fma_f64 v[10:11], v[247:248], s[26:27], -v[88:89]
	v_add_f64_e32 v[6:7], v[10:11], v[6:7]
	v_mul_f64_e32 v[10:11], s[26:27], v[211:212]
	scratch_store_b64 off, v[10:11], off offset:380 ; 8-byte Folded Spill
	v_fma_f64 v[10:11], v[223:224], s[48:49], v[10:11]
	s_delay_alu instid0(VALU_DEP_1) | instskip(SKIP_1) | instid1(VALU_DEP_1)
	v_add_f64_e32 v[8:9], v[10:11], v[8:9]
	v_fma_f64 v[10:11], v[207:208], s[18:19], -v[54:55]
	v_add_f64_e32 v[6:7], v[10:11], v[6:7]
	v_fma_f64 v[10:11], v[249:250], s[46:47], v[62:63]
	s_delay_alu instid0(VALU_DEP_1) | instskip(SKIP_1) | instid1(VALU_DEP_1)
	v_add_f64_e32 v[8:9], v[10:11], v[8:9]
	v_fma_f64 v[10:11], v[235:236], s[2:3], -v[56:57]
	v_add_f64_e32 v[184:185], v[10:11], v[6:7]
	v_fma_f64 v[6:7], v[231:232], s[52:53], v[70:71]
	v_fma_f64 v[10:11], v[209:210], s[34:35], v[64:65]
	s_delay_alu instid0(VALU_DEP_2) | instskip(SKIP_4) | instid1(VALU_DEP_1)
	v_add_f64_e32 v[186:187], v[6:7], v[8:9]
	v_mul_f64_e32 v[6:7], s[20:21], v[245:246]
	v_fma_f64 v[8:9], v[201:202], s[30:31], -v[52:53]
	scratch_store_b64 off, v[6:7], off offset:716 ; 8-byte Folded Spill
	v_fma_f64 v[6:7], v[241:242], s[18:19], -v[6:7]
	v_add_f64_e32 v[6:7], v[128:129], v[6:7]
	s_delay_alu instid0(VALU_DEP_1) | instskip(SKIP_3) | instid1(VALU_DEP_1)
	v_add_f64_e32 v[6:7], v[8:9], v[6:7]
	v_mul_f64_e32 v[8:9], s[18:19], v[4:5]
	scratch_store_b64 off, v[8:9], off offset:724 ; 8-byte Folded Spill
	v_fma_f64 v[8:9], v[2:3], s[20:21], v[8:9]
	v_add_f64_e32 v[8:9], v[130:131], v[8:9]
	s_delay_alu instid0(VALU_DEP_1) | instskip(SKIP_1) | instid1(VALU_DEP_1)
	v_add_f64_e32 v[8:9], v[10:11], v[8:9]
	v_fma_f64 v[10:11], v[205:206], s[40:41], -v[58:59]
	v_add_f64_e32 v[6:7], v[10:11], v[6:7]
	v_fma_f64 v[10:11], v[221:222], s[56:57], v[74:75]
	s_delay_alu instid0(VALU_DEP_1) | instskip(SKIP_1) | instid1(VALU_DEP_1)
	v_add_f64_e32 v[8:9], v[10:11], v[8:9]
	v_fma_f64 v[10:11], v[217:218], s[26:27], -v[60:61]
	v_add_f64_e32 v[6:7], v[10:11], v[6:7]
	v_mul_f64_e32 v[10:11], s[26:27], v[239:240]
	scratch_store_b64 off, v[10:11], off offset:388 ; 8-byte Folded Spill
	v_fma_f64 v[10:11], v[233:234], s[48:49], v[10:11]
	s_delay_alu instid0(VALU_DEP_1) | instskip(SKIP_4) | instid1(VALU_DEP_1)
	v_add_f64_e32 v[8:9], v[10:11], v[8:9]
	s_wait_alu 0xfffe
	v_mul_f64_e32 v[10:11], s[50:51], v[203:204]
	scratch_store_b64 off, v[10:11], off offset:372 ; 8-byte Folded Spill
	v_fma_f64 v[10:11], v[229:230], s[10:11], -v[10:11]
	v_add_f64_e32 v[6:7], v[10:11], v[6:7]
	v_mul_f64_e32 v[10:11], s[10:11], v[219:220]
	scratch_store_b64 off, v[10:11], off offset:556 ; 8-byte Folded Spill
	v_fma_f64 v[10:11], v[251:252], s[50:51], v[10:11]
	s_delay_alu instid0(VALU_DEP_1) | instskip(SKIP_3) | instid1(VALU_DEP_1)
	v_add_f64_e32 v[8:9], v[10:11], v[8:9]
	v_mul_f64_e32 v[10:11], s[16:17], v[253:254]
	scratch_store_b64 off, v[10:11], off offset:524 ; 8-byte Folded Spill
	v_fma_f64 v[10:11], v[247:248], s[2:3], -v[10:11]
	v_add_f64_e32 v[6:7], v[10:11], v[6:7]
	v_mul_f64_e32 v[10:11], s[2:3], v[211:212]
	scratch_store_b64 off, v[10:11], off offset:628 ; 8-byte Folded Spill
	v_fma_f64 v[10:11], v[223:224], s[16:17], v[10:11]
	s_delay_alu instid0(VALU_DEP_1) | instskip(SKIP_3) | instid1(VALU_DEP_1)
	v_add_f64_e32 v[8:9], v[10:11], v[8:9]
	v_mul_f64_e32 v[10:11], s[24:25], v[76:77]
	scratch_store_b64 off, v[10:11], off offset:340 ; 8-byte Folded Spill
	v_fma_f64 v[10:11], v[207:208], s[22:23], -v[10:11]
	v_add_f64_e32 v[6:7], v[10:11], v[6:7]
	v_mul_f64_e32 v[10:11], s[22:23], v[243:244]
	scratch_store_b64 off, v[10:11], off offset:396 ; 8-byte Folded Spill
	v_fma_f64 v[10:11], v[249:250], s[24:25], v[10:11]
	s_delay_alu instid0(VALU_DEP_1) | instskip(SKIP_1) | instid1(VALU_DEP_1)
	v_add_f64_e32 v[8:9], v[10:11], v[8:9]
	v_fma_f64 v[10:11], v[235:236], s[36:37], -v[72:73]
	v_add_f64_e32 v[188:189], v[10:11], v[6:7]
	v_mul_f64_e32 v[6:7], s[36:37], v[78:79]
	v_mul_f64_e32 v[10:11], s[40:41], v[213:214]
	s_clause 0x1
	scratch_store_b64 off, v[6:7], off offset:484
	scratch_store_b64 off, v[10:11], off offset:364
	v_fma_f64 v[6:7], v[231:232], s[38:39], v[6:7]
	v_fma_f64 v[10:11], v[209:210], s[42:43], v[10:11]
	s_delay_alu instid0(VALU_DEP_2) | instskip(SKIP_4) | instid1(VALU_DEP_1)
	v_add_f64_e32 v[190:191], v[6:7], v[8:9]
	v_mul_f64_e32 v[6:7], s[24:25], v[245:246]
	v_fma_f64 v[8:9], v[201:202], s[40:41], -v[66:67]
	scratch_store_b64 off, v[6:7], off offset:732 ; 8-byte Folded Spill
	v_fma_f64 v[6:7], v[241:242], s[22:23], -v[6:7]
	v_add_f64_e32 v[6:7], v[128:129], v[6:7]
	s_delay_alu instid0(VALU_DEP_1) | instskip(SKIP_1) | instid1(VALU_DEP_1)
	v_add_f64_e32 v[6:7], v[8:9], v[6:7]
	v_mul_f64_e32 v[8:9], s[22:23], v[4:5]
	v_dual_mov_b32 v95, v9 :: v_dual_mov_b32 v94, v8
	v_fma_f64 v[8:9], v[2:3], s[24:25], v[8:9]
	s_delay_alu instid0(VALU_DEP_1) | instskip(NEXT) | instid1(VALU_DEP_1)
	v_add_f64_e32 v[8:9], v[130:131], v[8:9]
	v_add_f64_e32 v[8:9], v[10:11], v[8:9]
	v_fma_f64 v[10:11], v[205:206], s[26:27], -v[80:81]
	s_delay_alu instid0(VALU_DEP_1) | instskip(SKIP_3) | instid1(VALU_DEP_1)
	v_add_f64_e32 v[6:7], v[10:11], v[6:7]
	v_mul_f64_e32 v[10:11], s[26:27], v[225:226]
	scratch_store_b64 off, v[10:11], off offset:516 ; 8-byte Folded Spill
	v_fma_f64 v[10:11], v[221:222], s[48:49], v[10:11]
	v_add_f64_e32 v[8:9], v[10:11], v[8:9]
	v_mul_f64_e32 v[10:11], s[52:53], v[237:238]
	scratch_store_b64 off, v[10:11], off offset:356 ; 8-byte Folded Spill
	v_fma_f64 v[10:11], v[217:218], s[2:3], -v[10:11]
	s_delay_alu instid0(VALU_DEP_1) | instskip(SKIP_3) | instid1(VALU_DEP_1)
	v_add_f64_e32 v[6:7], v[10:11], v[6:7]
	v_mul_f64_e32 v[10:11], s[2:3], v[239:240]
	scratch_store_b64 off, v[10:11], off offset:572 ; 8-byte Folded Spill
	v_fma_f64 v[10:11], v[233:234], s[52:53], v[10:11]
	v_add_f64_e32 v[8:9], v[10:11], v[8:9]
	v_mul_f64_e32 v[10:11], s[20:21], v[203:204]
	scratch_store_b64 off, v[10:11], off offset:548 ; 8-byte Folded Spill
	;; [unrolled: 9-line block ×5, first 2 shown]
	v_fma_f64 v[10:11], v[235:236], s[10:11], -v[10:11]
	s_delay_alu instid0(VALU_DEP_1)
	v_add_f64_e32 v[196:197], v[10:11], v[6:7]
	v_mul_f64_e32 v[6:7], s[10:11], v[78:79]
	v_mul_f64_e32 v[10:11], s[44:45], v[215:216]
	s_clause 0x1
	scratch_store_b64 off, v[6:7], off offset:564
	scratch_store_b64 off, v[10:11], off offset:348
	v_fma_f64 v[6:7], v[231:232], s[50:51], v[6:7]
	v_fma_f64 v[10:11], v[201:202], s[36:37], -v[10:11]
	s_delay_alu instid0(VALU_DEP_2) | instskip(SKIP_1) | instid1(VALU_DEP_1)
	v_add_f64_e32 v[198:199], v[6:7], v[8:9]
	v_mul_f64_e32 v[6:7], s[28:29], v[245:246]
	v_fma_f64 v[8:9], v[241:242], s[26:27], -v[6:7]
	s_delay_alu instid0(VALU_DEP_1) | instskip(NEXT) | instid1(VALU_DEP_1)
	v_add_f64_e32 v[8:9], v[128:129], v[8:9]
	v_add_f64_e32 v[10:11], v[10:11], v[8:9]
	v_mul_f64_e32 v[8:9], s[26:27], v[4:5]
	s_delay_alu instid0(VALU_DEP_1) | instskip(NEXT) | instid1(VALU_DEP_1)
	v_fma_f64 v[13:14], v[2:3], s[28:29], v[8:9]
	v_add_f64_e32 v[13:14], v[130:131], v[13:14]
	s_delay_alu instid0(VALU_DEP_1) | instskip(SKIP_3) | instid1(VALU_DEP_1)
	v_add_f64_e32 v[13:14], v[16:17], v[13:14]
	v_mul_f64_e32 v[15:16], s[50:51], v[227:228]
	scratch_store_b64 off, v[15:16], off offset:492 ; 8-byte Folded Spill
	v_fma_f64 v[16:17], v[205:206], s[10:11], -v[15:16]
	v_add_f64_e32 v[10:11], v[16:17], v[10:11]
	v_mul_f64_e32 v[15:16], s[10:11], v[225:226]
	scratch_store_b64 off, v[15:16], off offset:596 ; 8-byte Folded Spill
	v_fma_f64 v[16:17], v[221:222], s[50:51], v[15:16]
	s_delay_alu instid0(VALU_DEP_1) | instskip(SKIP_3) | instid1(VALU_DEP_1)
	v_add_f64_e32 v[13:14], v[16:17], v[13:14]
	v_mul_f64_e32 v[15:16], s[20:21], v[237:238]
	scratch_store_b64 off, v[15:16], off offset:500 ; 8-byte Folded Spill
	v_fma_f64 v[16:17], v[217:218], s[18:19], -v[15:16]
	v_add_f64_e32 v[10:11], v[16:17], v[10:11]
	v_mul_f64_e32 v[15:16], s[18:19], v[239:240]
	scratch_store_b64 off, v[15:16], off offset:644 ; 8-byte Folded Spill
	v_fma_f64 v[16:17], v[233:234], s[20:21], v[15:16]
	;; [unrolled: 9-line block ×5, first 2 shown]
	s_delay_alu instid0(VALU_DEP_1)
	v_add_f64_e32 v[13:14], v[16:17], v[13:14]
	v_mul_f64_e32 v[15:16], s[34:35], v[0:1]
	scratch_store_b64 off, v[15:16], off offset:588 ; 8-byte Folded Spill
	v_fma_f64 v[16:17], v[235:236], s[30:31], -v[15:16]
	global_wb scope:SCOPE_SE
	s_wait_storecnt 0x0
	s_barrier_signal -1
	s_barrier_wait -1
	global_inv scope:SCOPE_SE
	v_add_f64_e32 v[192:193], v[16:17], v[10:11]
	v_mul_f64_e32 v[15:16], s[30:31], v[78:79]
	s_delay_alu instid0(VALU_DEP_1) | instskip(NEXT) | instid1(VALU_DEP_1)
	v_fma_f64 v[10:11], v[231:232], s[34:35], v[15:16]
	v_add_f64_e32 v[194:195], v[10:11], v[13:14]
	s_and_saveexec_b32 s1, vcc_lo
	s_cbranch_execz .LBB0_17
; %bb.16:
	v_add_f64_e32 v[10:11], v[130:131], v[166:167]
	v_add_f64_e32 v[13:14], v[128:129], v[164:165]
	v_dual_mov_b32 v167, v41 :: v_dual_mov_b32 v166, v40
	v_dual_mov_b32 v165, v39 :: v_dual_mov_b32 v164, v38
	v_mul_f64_e32 v[38:39], s[34:35], v[245:246]
	v_add_f64_e32 v[10:11], v[10:11], v[134:135]
	v_add_f64_e32 v[13:14], v[13:14], v[132:133]
	v_dual_mov_b32 v133, v61 :: v_dual_mov_b32 v132, v60
	v_dual_mov_b32 v135, v63 :: v_dual_mov_b32 v134, v62
	s_delay_alu instid0(VALU_DEP_4) | instskip(NEXT) | instid1(VALU_DEP_4)
	v_add_f64_e32 v[10:11], v[10:11], v[138:139]
	v_add_f64_e32 v[13:14], v[13:14], v[136:137]
	v_dual_mov_b32 v137, v65 :: v_dual_mov_b32 v136, v64
	v_dual_mov_b32 v139, v67 :: v_dual_mov_b32 v138, v66
	s_delay_alu instid0(VALU_DEP_4) | instskip(NEXT) | instid1(VALU_DEP_4)
	v_add_f64_e32 v[10:11], v[10:11], v[146:147]
	v_add_f64_e32 v[13:14], v[13:14], v[144:145]
	v_dual_mov_b32 v147, v21 :: v_dual_mov_b32 v146, v20
	v_mul_f64_e32 v[20:21], s[34:35], v[2:3]
	v_dual_mov_b32 v145, v19 :: v_dual_mov_b32 v144, v18
	v_add_f64_e32 v[10:11], v[10:11], v[150:151]
	v_add_f64_e32 v[13:14], v[13:14], v[148:149]
	v_dual_mov_b32 v149, v23 :: v_dual_mov_b32 v148, v22
	v_fma_f64 v[22:23], v[4:5], s[30:31], v[20:21]
	v_dual_mov_b32 v151, v25 :: v_dual_mov_b32 v150, v24
	v_mul_f64_e32 v[24:25], s[22:23], v[241:242]
	v_add_f64_e32 v[10:11], v[10:11], v[154:155]
	v_add_f64_e32 v[13:14], v[13:14], v[152:153]
	v_dual_mov_b32 v153, v27 :: v_dual_mov_b32 v152, v26
	v_mul_f64_e32 v[26:27], s[20:21], v[2:3]
	v_dual_mov_b32 v155, v29 :: v_dual_mov_b32 v154, v28
	v_mul_f64_e32 v[28:29], s[18:19], v[241:242]
	v_add_f64_e32 v[22:23], v[130:131], v[22:23]
	v_add_f64_e32 v[10:11], v[10:11], v[158:159]
	;; [unrolled: 1-line block ×3, first 2 shown]
	v_dual_mov_b32 v157, v31 :: v_dual_mov_b32 v156, v30
	v_mul_f64_e32 v[30:31], s[14:15], v[2:3]
	v_dual_mov_b32 v159, v33 :: v_dual_mov_b32 v158, v32
	v_mul_f64_e32 v[32:33], s[10:11], v[241:242]
	v_add_f64_e32 v[10:11], v[10:11], v[162:163]
	v_add_f64_e32 v[13:14], v[13:14], v[160:161]
	v_dual_mov_b32 v161, v35 :: v_dual_mov_b32 v160, v34
	v_mul_f64_e32 v[34:35], s[42:43], v[245:246]
	v_dual_mov_b32 v163, v37 :: v_dual_mov_b32 v162, v36
	v_mul_f64_e32 v[36:37], s[38:39], v[245:246]
	v_add_f64_e32 v[10:11], v[10:11], v[170:171]
	v_add_f64_e32 v[13:14], v[13:14], v[168:169]
	v_dual_mov_b32 v169, v43 :: v_dual_mov_b32 v168, v42
	v_fma_f64 v[40:41], v[241:242], s[40:41], -v[34:35]
	v_fma_f64 v[34:35], v[241:242], s[40:41], v[34:35]
	v_dual_mov_b32 v171, v73 :: v_dual_mov_b32 v170, v72
	v_fma_f64 v[42:43], v[241:242], s[36:37], -v[36:37]
	v_fma_f64 v[36:37], v[241:242], s[36:37], v[36:37]
	v_add_f64_e32 v[10:11], v[10:11], v[178:179]
	v_add_f64_e32 v[13:14], v[13:14], v[176:177]
	v_dual_mov_b32 v177, v75 :: v_dual_mov_b32 v176, v74
	v_add_f64_e32 v[40:41], v[128:129], v[40:41]
	v_add_f64_e32 v[34:35], v[128:129], v[34:35]
	v_mul_f64_e32 v[74:75], s[54:55], v[231:232]
	v_dual_mov_b32 v179, v81 :: v_dual_mov_b32 v178, v80
	v_add_f64_e32 v[42:43], v[128:129], v[42:43]
	v_add_f64_e32 v[36:37], v[128:129], v[36:37]
	v_mul_f64_e32 v[80:81], s[54:55], v[0:1]
	v_add_f64_e32 v[10:11], v[10:11], v[182:183]
	v_add_f64_e32 v[13:14], v[13:14], v[180:181]
	v_dual_mov_b32 v181, v16 :: v_dual_mov_b32 v180, v15
	v_mul_f64_e32 v[16:17], s[38:39], v[2:3]
	s_delay_alu instid0(VALU_DEP_4) | instskip(NEXT) | instid1(VALU_DEP_4)
	v_add_f64_e32 v[10:11], v[10:11], v[142:143]
	v_add_f64_e32 v[13:14], v[13:14], v[140:141]
	v_dual_mov_b32 v141, v69 :: v_dual_mov_b32 v140, v68
	s_delay_alu instid0(VALU_DEP_4)
	v_fma_f64 v[18:19], v[4:5], s[36:37], v[16:17]
	v_fma_f64 v[16:17], v[4:5], s[36:37], -v[16:17]
	v_dual_mov_b32 v143, v71 :: v_dual_mov_b32 v142, v70
	v_add_f64_e32 v[10:11], v[10:11], v[126:127]
	v_add_f64_e32 v[13:14], v[13:14], v[124:125]
	v_dual_mov_b32 v125, v53 :: v_dual_mov_b32 v124, v52
	v_dual_mov_b32 v127, v55 :: v_dual_mov_b32 v126, v54
	v_add_f64_e32 v[18:19], v[130:131], v[18:19]
	v_add_f64_e32 v[16:17], v[130:131], v[16:17]
	v_add_f64_e32 v[10:11], v[10:11], v[122:123]
	v_add_f64_e32 v[13:14], v[13:14], v[120:121]
	v_dual_mov_b32 v121, v47 :: v_dual_mov_b32 v120, v46
	v_mul_f64_e32 v[46:47], s[2:3], v[241:242]
	v_dual_mov_b32 v123, v51 :: v_dual_mov_b32 v122, v50
	v_add_f64_e32 v[10:11], v[10:11], v[114:115]
	v_add_f64_e32 v[13:14], v[13:14], v[112:113]
	s_delay_alu instid0(VALU_DEP_4) | instskip(NEXT) | instid1(VALU_DEP_3)
	v_add_f64_e32 v[46:47], v[46:47], v[48:49]
	v_add_f64_e32 v[114:115], v[10:11], v[118:119]
	v_mul_f64_e32 v[10:11], s[42:43], v[2:3]
	s_delay_alu instid0(VALU_DEP_4)
	v_add_f64_e32 v[112:113], v[13:14], v[116:117]
	scratch_load_b64 v[116:117], off, off offset:700 th:TH_LOAD_LU ; 8-byte Folded Reload
	v_add_f64_e32 v[46:47], v[128:129], v[46:47]
	v_fma_f64 v[13:14], v[4:5], s[40:41], v[10:11]
	v_fma_f64 v[10:11], v[4:5], s[40:41], -v[10:11]
	v_fma_f64 v[4:5], v[4:5], s[30:31], -v[20:21]
	v_mul_f64_e32 v[20:21], s[28:29], v[2:3]
	s_delay_alu instid0(VALU_DEP_4) | instskip(NEXT) | instid1(VALU_DEP_4)
	v_add_f64_e32 v[13:14], v[130:131], v[13:14]
	v_add_f64_e32 v[10:11], v[130:131], v[10:11]
	s_delay_alu instid0(VALU_DEP_4) | instskip(NEXT) | instid1(VALU_DEP_4)
	v_add_f64_e32 v[48:49], v[130:131], v[4:5]
	v_add_f64_e64 v[8:9], v[8:9], -v[20:21]
	v_mul_f64_e32 v[20:21], s[26:27], v[241:242]
	s_delay_alu instid0(VALU_DEP_2) | instskip(NEXT) | instid1(VALU_DEP_2)
	v_add_f64_e32 v[50:51], v[130:131], v[8:9]
	v_add_f64_e32 v[6:7], v[20:21], v[6:7]
	v_mul_f64_e32 v[20:21], s[24:25], v[2:3]
	v_mul_f64_e32 v[2:3], s[16:17], v[2:3]
	;; [unrolled: 1-line block ×3, first 2 shown]
	s_delay_alu instid0(VALU_DEP_4) | instskip(NEXT) | instid1(VALU_DEP_4)
	v_add_f64_e32 v[52:53], v[128:129], v[6:7]
	v_add_f64_e64 v[20:21], v[94:95], -v[20:21]
	scratch_load_b64 v[94:95], off, off offset:732 th:TH_LOAD_LU ; 8-byte Folded Reload
	v_add_f64_e64 v[2:3], v[44:45], -v[2:3]
	v_mul_f64_e32 v[6:7], s[52:53], v[209:210]
	v_fma_f64 v[4:5], v[201:202], s[2:3], -v[8:9]
	v_fma_f64 v[44:45], v[241:242], s[30:31], -v[38:39]
	v_fma_f64 v[38:39], v[241:242], s[30:31], v[38:39]
	v_fma_f64 v[8:9], v[201:202], s[2:3], v[8:9]
	v_add_f64_e32 v[20:21], v[130:131], v[20:21]
	v_add_f64_e32 v[54:55], v[130:131], v[2:3]
	v_fma_f64 v[2:3], v[213:214], s[2:3], v[6:7]
	v_add_f64_e32 v[4:5], v[4:5], v[40:41]
	v_add_f64_e32 v[44:45], v[128:129], v[44:45]
	;; [unrolled: 1-line block ×3, first 2 shown]
	v_fma_f64 v[6:7], v[213:214], s[2:3], -v[6:7]
	v_add_f64_e32 v[8:9], v[8:9], v[34:35]
	v_add_f64_e32 v[2:3], v[2:3], v[13:14]
	v_mul_f64_e32 v[13:14], s[38:39], v[221:222]
	s_delay_alu instid0(VALU_DEP_4) | instskip(NEXT) | instid1(VALU_DEP_2)
	v_add_f64_e32 v[6:7], v[6:7], v[10:11]
	v_fma_f64 v[40:41], v[225:226], s[36:37], v[13:14]
	v_fma_f64 v[10:11], v[225:226], s[36:37], -v[13:14]
	v_fma_f64 v[13:14], v[235:236], s[22:23], v[80:81]
	s_delay_alu instid0(VALU_DEP_3) | instskip(SKIP_1) | instid1(VALU_DEP_4)
	v_add_f64_e32 v[2:3], v[40:41], v[2:3]
	v_mul_f64_e32 v[40:41], s[38:39], v[227:228]
	v_add_f64_e32 v[6:7], v[10:11], v[6:7]
	s_wait_loadcnt 0x1
	v_add_f64_e64 v[30:31], v[116:117], -v[30:31]
	scratch_load_b64 v[116:117], off, off offset:692 th:TH_LOAD_LU ; 8-byte Folded Reload
	v_fma_f64 v[10:11], v[205:206], s[36:37], v[40:41]
	v_add_f64_e32 v[30:31], v[130:131], v[30:31]
	s_delay_alu instid0(VALU_DEP_2)
	v_add_f64_e32 v[8:9], v[10:11], v[8:9]
	s_wait_loadcnt 0x1
	v_add_f64_e32 v[24:25], v[24:25], v[94:95]
	scratch_load_b64 v[94:95], off, off offset:724 th:TH_LOAD_LU ; 8-byte Folded Reload
	v_add_f64_e32 v[24:25], v[128:129], v[24:25]
	s_wait_loadcnt 0x1
	v_add_f64_e32 v[32:33], v[32:33], v[116:117]
	s_delay_alu instid0(VALU_DEP_1)
	v_add_f64_e32 v[32:33], v[128:129], v[32:33]
	s_wait_loadcnt 0x0
	v_add_f64_e64 v[26:27], v[94:95], -v[26:27]
	scratch_load_b64 v[94:95], off, off offset:716 th:TH_LOAD_LU ; 8-byte Folded Reload
	v_add_f64_e32 v[26:27], v[130:131], v[26:27]
	v_dual_mov_b32 v131, v59 :: v_dual_mov_b32 v130, v58
	s_wait_loadcnt 0x0
	v_add_f64_e32 v[28:29], v[28:29], v[94:95]
	s_delay_alu instid0(VALU_DEP_1) | instskip(SKIP_3) | instid1(VALU_DEP_2)
	v_add_f64_e32 v[28:29], v[128:129], v[28:29]
	v_dual_mov_b32 v129, v57 :: v_dual_mov_b32 v128, v56
	v_fma_f64 v[56:57], v[205:206], s[36:37], -v[40:41]
	v_mul_f64_e32 v[40:41], s[24:25], v[221:222]
	v_add_f64_e32 v[4:5], v[56:57], v[4:5]
	v_mul_f64_e32 v[56:57], s[50:51], v[233:234]
	s_delay_alu instid0(VALU_DEP_1) | instskip(SKIP_1) | instid1(VALU_DEP_2)
	v_fma_f64 v[58:59], v[239:240], s[10:11], v[56:57]
	v_fma_f64 v[10:11], v[239:240], s[10:11], -v[56:57]
	v_add_f64_e32 v[2:3], v[58:59], v[2:3]
	v_mul_f64_e32 v[58:59], s[50:51], v[237:238]
	s_delay_alu instid0(VALU_DEP_3) | instskip(NEXT) | instid1(VALU_DEP_2)
	v_add_f64_e32 v[6:7], v[10:11], v[6:7]
	v_fma_f64 v[60:61], v[217:218], s[10:11], -v[58:59]
	v_fma_f64 v[10:11], v[217:218], s[10:11], v[58:59]
	s_delay_alu instid0(VALU_DEP_2) | instskip(SKIP_1) | instid1(VALU_DEP_3)
	v_add_f64_e32 v[4:5], v[60:61], v[4:5]
	v_mul_f64_e32 v[60:61], s[34:35], v[251:252]
	v_add_f64_e32 v[8:9], v[10:11], v[8:9]
	s_delay_alu instid0(VALU_DEP_2) | instskip(SKIP_1) | instid1(VALU_DEP_2)
	v_fma_f64 v[62:63], v[219:220], s[30:31], v[60:61]
	v_fma_f64 v[10:11], v[219:220], s[30:31], -v[60:61]
	v_add_f64_e32 v[2:3], v[62:63], v[2:3]
	v_mul_f64_e32 v[62:63], s[34:35], v[203:204]
	s_delay_alu instid0(VALU_DEP_3) | instskip(NEXT) | instid1(VALU_DEP_2)
	v_add_f64_e32 v[6:7], v[10:11], v[6:7]
	v_fma_f64 v[64:65], v[229:230], s[30:31], -v[62:63]
	v_fma_f64 v[10:11], v[229:230], s[30:31], v[62:63]
	s_delay_alu instid0(VALU_DEP_2) | instskip(SKIP_1) | instid1(VALU_DEP_3)
	v_add_f64_e32 v[4:5], v[64:65], v[4:5]
	v_mul_f64_e32 v[64:65], s[46:47], v[223:224]
	v_add_f64_e32 v[8:9], v[10:11], v[8:9]
	s_delay_alu instid0(VALU_DEP_2) | instskip(SKIP_1) | instid1(VALU_DEP_2)
	;; [unrolled: 13-line block ×3, first 2 shown]
	v_fma_f64 v[70:71], v[243:244], s[26:27], v[68:69]
	v_fma_f64 v[10:11], v[243:244], s[26:27], -v[68:69]
	v_add_f64_e32 v[2:3], v[70:71], v[2:3]
	v_mul_f64_e32 v[70:71], s[28:29], v[76:77]
	s_delay_alu instid0(VALU_DEP_3) | instskip(NEXT) | instid1(VALU_DEP_2)
	v_add_f64_e32 v[6:7], v[10:11], v[6:7]
	v_fma_f64 v[10:11], v[207:208], s[26:27], v[70:71]
	v_fma_f64 v[72:73], v[207:208], s[26:27], -v[70:71]
	s_delay_alu instid0(VALU_DEP_2) | instskip(SKIP_1) | instid1(VALU_DEP_3)
	v_add_f64_e32 v[10:11], v[10:11], v[8:9]
	v_fma_f64 v[8:9], v[78:79], s[22:23], -v[74:75]
	v_add_f64_e32 v[72:73], v[72:73], v[4:5]
	v_fma_f64 v[4:5], v[78:79], s[22:23], v[74:75]
	s_delay_alu instid0(VALU_DEP_3) | instskip(SKIP_2) | instid1(VALU_DEP_4)
	v_add_f64_e32 v[8:9], v[8:9], v[6:7]
	v_add_f64_e32 v[6:7], v[13:14], v[10:11]
	v_mul_f64_e32 v[10:11], s[46:47], v[209:210]
	v_add_f64_e32 v[4:5], v[4:5], v[2:3]
	v_fma_f64 v[2:3], v[235:236], s[22:23], -v[80:81]
	v_mul_f64_e32 v[80:81], s[42:43], v[233:234]
	s_delay_alu instid0(VALU_DEP_4) | instskip(SKIP_1) | instid1(VALU_DEP_4)
	v_fma_f64 v[13:14], v[213:214], s[18:19], v[10:11]
	v_fma_f64 v[10:11], v[213:214], s[18:19], -v[10:11]
	v_add_f64_e32 v[2:3], v[2:3], v[72:73]
	s_delay_alu instid0(VALU_DEP_4) | instskip(SKIP_4) | instid1(VALU_DEP_4)
	v_add_f64_e64 v[80:81], v[82:83], -v[80:81]
	v_mul_f64_e32 v[82:83], s[34:35], v[221:222]
	v_add_f64_e32 v[13:14], v[13:14], v[18:19]
	v_mul_f64_e32 v[18:19], s[46:47], v[215:216]
	v_add_f64_e32 v[10:11], v[10:11], v[16:17]
	v_add_f64_e64 v[82:83], v[84:85], -v[82:83]
	v_mul_f64_e32 v[84:85], s[24:25], v[209:210]
	s_delay_alu instid0(VALU_DEP_4) | instskip(SKIP_2) | instid1(VALU_DEP_4)
	v_fma_f64 v[34:35], v[201:202], s[18:19], -v[18:19]
	v_fma_f64 v[16:17], v[201:202], s[18:19], v[18:19]
	v_fma_f64 v[18:19], v[225:226], s[22:23], -v[40:41]
	v_add_f64_e64 v[84:85], v[86:87], -v[84:85]
	v_mul_f64_e32 v[86:87], s[26:27], v[247:248]
	v_add_f64_e32 v[34:35], v[34:35], v[42:43]
	v_fma_f64 v[42:43], v[225:226], s[22:23], v[40:41]
	v_add_f64_e32 v[16:17], v[16:17], v[36:37]
	v_add_f64_e32 v[10:11], v[18:19], v[10:11]
	;; [unrolled: 1-line block ×4, first 2 shown]
	v_mul_f64_e32 v[88:89], s[36:37], v[229:230]
	v_mul_f64_e32 v[84:85], s[40:41], v[217:218]
	v_add_f64_e32 v[13:14], v[42:43], v[13:14]
	v_mul_f64_e32 v[42:43], s[24:25], v[227:228]
	v_add_f64_e32 v[30:31], v[82:83], v[30:31]
	;; [unrolled: 2-line block ×4, first 2 shown]
	v_fma_f64 v[56:57], v[205:206], s[22:23], -v[42:43]
	v_fma_f64 v[18:19], v[205:206], s[22:23], v[42:43]
	v_add_f64_e32 v[30:31], v[80:81], v[30:31]
	v_mul_f64_e32 v[80:81], s[18:19], v[207:208]
	v_add_f64_e64 v[82:83], v[134:135], -v[82:83]
	v_add_f64_e32 v[90:91], v[90:91], v[92:93]
	v_mul_f64_e32 v[92:93], s[30:31], v[205:206]
	v_add_f64_e32 v[34:35], v[56:57], v[34:35]
	v_mul_f64_e32 v[56:57], s[58:59], v[233:234]
	v_add_f64_e32 v[16:17], v[18:19], v[16:17]
	v_add_f64_e32 v[80:81], v[80:81], v[126:127]
	;; [unrolled: 1-line block ×4, first 2 shown]
	v_fma_f64 v[58:59], v[239:240], s[30:31], v[56:57]
	v_fma_f64 v[18:19], v[239:240], s[30:31], -v[56:57]
	s_delay_alu instid0(VALU_DEP_3) | instskip(NEXT) | instid1(VALU_DEP_3)
	v_add_f64_e32 v[32:33], v[92:93], v[32:33]
	v_add_f64_e32 v[13:14], v[58:59], v[13:14]
	v_mul_f64_e32 v[58:59], s[58:59], v[237:238]
	s_delay_alu instid0(VALU_DEP_4) | instskip(NEXT) | instid1(VALU_DEP_4)
	v_add_f64_e32 v[10:11], v[18:19], v[10:11]
	v_add_f64_e32 v[32:33], v[84:85], v[32:33]
	scratch_load_b64 v[84:85], off, off offset:524 th:TH_LOAD_LU ; 8-byte Folded Reload
	v_fma_f64 v[60:61], v[217:218], s[30:31], -v[58:59]
	v_fma_f64 v[18:19], v[217:218], s[30:31], v[58:59]
	v_add_f64_e32 v[32:33], v[88:89], v[32:33]
	v_mul_f64_e32 v[88:89], s[40:41], v[205:206]
	s_delay_alu instid0(VALU_DEP_4)
	v_add_f64_e32 v[34:35], v[60:61], v[34:35]
	v_mul_f64_e32 v[60:61], s[16:17], v[251:252]
	v_add_f64_e32 v[16:17], v[18:19], v[16:17]
	v_add_f64_e32 v[32:33], v[86:87], v[32:33]
	scratch_load_b64 v[86:87], off, off offset:372 th:TH_LOAD_LU ; 8-byte Folded Reload
	v_add_f64_e32 v[88:89], v[88:89], v[130:131]
	v_fma_f64 v[62:63], v[219:220], s[2:3], v[60:61]
	v_fma_f64 v[18:19], v[219:220], s[2:3], -v[60:61]
	v_add_f64_e32 v[32:33], v[80:81], v[32:33]
	v_mul_f64_e32 v[80:81], s[34:35], v[209:210]
	s_delay_alu instid0(VALU_DEP_4) | instskip(SKIP_2) | instid1(VALU_DEP_4)
	v_add_f64_e32 v[13:14], v[62:63], v[13:14]
	v_mul_f64_e32 v[62:63], s[16:17], v[203:204]
	v_add_f64_e32 v[10:11], v[18:19], v[10:11]
	v_add_f64_e64 v[80:81], v[136:137], -v[80:81]
	s_delay_alu instid0(VALU_DEP_3) | instskip(SKIP_1) | instid1(VALU_DEP_3)
	v_fma_f64 v[64:65], v[229:230], s[2:3], -v[62:63]
	v_fma_f64 v[18:19], v[229:230], s[2:3], v[62:63]
	v_add_f64_e32 v[26:27], v[80:81], v[26:27]
	v_mul_f64_e32 v[80:81], s[26:27], v[217:218]
	s_delay_alu instid0(VALU_DEP_4) | instskip(SKIP_2) | instid1(VALU_DEP_4)
	v_add_f64_e32 v[34:35], v[64:65], v[34:35]
	v_mul_f64_e32 v[64:65], s[42:43], v[223:224]
	v_add_f64_e32 v[16:17], v[18:19], v[16:17]
	v_add_f64_e32 v[80:81], v[80:81], v[132:133]
	s_delay_alu instid0(VALU_DEP_3) | instskip(SKIP_1) | instid1(VALU_DEP_2)
	v_fma_f64 v[66:67], v[211:212], s[40:41], v[64:65]
	v_fma_f64 v[18:19], v[211:212], s[40:41], -v[64:65]
	v_add_f64_e32 v[13:14], v[66:67], v[13:14]
	v_mul_f64_e32 v[66:67], s[42:43], v[253:254]
	s_delay_alu instid0(VALU_DEP_3) | instskip(NEXT) | instid1(VALU_DEP_2)
	v_add_f64_e32 v[10:11], v[18:19], v[10:11]
	v_fma_f64 v[68:69], v[247:248], s[40:41], -v[66:67]
	v_fma_f64 v[18:19], v[247:248], s[40:41], v[66:67]
	s_delay_alu instid0(VALU_DEP_2) | instskip(SKIP_1) | instid1(VALU_DEP_3)
	v_add_f64_e32 v[34:35], v[68:69], v[34:35]
	v_mul_f64_e32 v[68:69], s[50:51], v[249:250]
	v_add_f64_e32 v[16:17], v[18:19], v[16:17]
	s_delay_alu instid0(VALU_DEP_2) | instskip(SKIP_1) | instid1(VALU_DEP_2)
	v_fma_f64 v[70:71], v[243:244], s[10:11], v[68:69]
	v_fma_f64 v[18:19], v[243:244], s[10:11], -v[68:69]
	v_add_f64_e32 v[13:14], v[70:71], v[13:14]
	v_mul_f64_e32 v[70:71], s[50:51], v[76:77]
	v_mul_f64_e32 v[76:77], s[42:43], v[76:77]
	s_delay_alu instid0(VALU_DEP_4) | instskip(NEXT) | instid1(VALU_DEP_3)
	v_add_f64_e32 v[10:11], v[18:19], v[10:11]
	v_fma_f64 v[72:73], v[207:208], s[10:11], -v[70:71]
	v_fma_f64 v[18:19], v[207:208], s[10:11], v[70:71]
	s_delay_alu instid0(VALU_DEP_2) | instskip(SKIP_1) | instid1(VALU_DEP_3)
	v_add_f64_e32 v[34:35], v[72:73], v[34:35]
	v_mul_f64_e32 v[72:73], s[28:29], v[231:232]
	v_add_f64_e32 v[16:17], v[18:19], v[16:17]
	s_delay_alu instid0(VALU_DEP_2) | instskip(SKIP_1) | instid1(VALU_DEP_2)
	v_fma_f64 v[74:75], v[78:79], s[26:27], v[72:73]
	v_fma_f64 v[18:19], v[78:79], s[26:27], -v[72:73]
	v_add_f64_e32 v[118:119], v[74:75], v[13:14]
	v_mul_f64_e32 v[13:14], s[28:29], v[0:1]
	v_mul_f64_e32 v[0:1], s[46:47], v[0:1]
	s_delay_alu instid0(VALU_DEP_2) | instskip(SKIP_1) | instid1(VALU_DEP_2)
	v_fma_f64 v[74:75], v[235:236], s[26:27], -v[13:14]
	v_fma_f64 v[13:14], v[235:236], s[26:27], v[13:14]
	v_add_f64_e32 v[116:117], v[74:75], v[34:35]
	scratch_load_b64 v[74:75], off, off offset:380 th:TH_LOAD_LU ; 8-byte Folded Reload
	v_mul_f64_e32 v[34:35], s[48:49], v[223:224]
	s_wait_loadcnt 0x0
	s_delay_alu instid0(VALU_DEP_1) | instskip(SKIP_1) | instid1(VALU_DEP_1)
	v_add_f64_e64 v[34:35], v[74:75], -v[34:35]
	v_mul_f64_e32 v[74:75], s[44:45], v[251:252]
	v_add_f64_e64 v[74:75], v[140:141], -v[74:75]
	v_add_f64_e32 v[140:141], v[13:14], v[16:17]
	s_delay_alu instid0(VALU_DEP_2) | instskip(SKIP_1) | instid1(VALU_DEP_2)
	v_add_f64_e32 v[30:31], v[74:75], v[30:31]
	v_mul_f64_e32 v[74:75], s[52:53], v[231:232]
	v_add_f64_e32 v[30:31], v[34:35], v[30:31]
	v_mul_f64_e32 v[34:35], s[2:3], v[235:236]
	s_delay_alu instid0(VALU_DEP_3) | instskip(SKIP_1) | instid1(VALU_DEP_4)
	v_add_f64_e64 v[74:75], v[142:143], -v[74:75]
	v_add_f64_e32 v[142:143], v[18:19], v[10:11]
	v_add_f64_e32 v[30:31], v[82:83], v[30:31]
	s_delay_alu instid0(VALU_DEP_4) | instskip(SKIP_1) | instid1(VALU_DEP_3)
	v_add_f64_e32 v[34:35], v[34:35], v[128:129]
	v_mul_f64_e32 v[82:83], s[2:3], v[247:248]
	v_add_f64_e32 v[122:123], v[74:75], v[30:31]
	s_delay_alu instid0(VALU_DEP_3)
	v_add_f64_e32 v[120:121], v[34:35], v[32:33]
	s_clause 0x2
	scratch_load_b64 v[32:33], off, off offset:628 th:TH_LOAD_LU
	scratch_load_b64 v[34:35], off, off offset:556 th:TH_LOAD_LU
	;; [unrolled: 1-line block ×3, first 2 shown]
	v_add_f64_e32 v[82:83], v[82:83], v[84:85]
	v_mul_f64_e32 v[84:85], s[10:11], v[229:230]
	v_mul_f64_e32 v[30:31], s[16:17], v[223:224]
	s_delay_alu instid0(VALU_DEP_2) | instskip(SKIP_1) | instid1(VALU_DEP_1)
	v_add_f64_e32 v[84:85], v[84:85], v[86:87]
	v_mul_f64_e32 v[86:87], s[30:31], v[201:202]
	v_add_f64_e32 v[86:87], v[86:87], v[124:125]
	s_delay_alu instid0(VALU_DEP_1) | instskip(SKIP_2) | instid1(VALU_DEP_1)
	v_add_f64_e32 v[28:29], v[86:87], v[28:29]
	scratch_load_b64 v[86:87], off, off offset:396 th:TH_LOAD_LU ; 8-byte Folded Reload
	v_add_f64_e32 v[28:29], v[88:89], v[28:29]
	v_add_f64_e32 v[28:29], v[80:81], v[28:29]
	scratch_load_b64 v[80:81], off, off offset:340 th:TH_LOAD_LU ; 8-byte Folded Reload
	v_add_f64_e32 v[28:29], v[84:85], v[28:29]
	v_mul_f64_e32 v[84:85], s[26:27], v[205:206]
	s_delay_alu instid0(VALU_DEP_2) | instskip(NEXT) | instid1(VALU_DEP_2)
	v_add_f64_e32 v[28:29], v[82:83], v[28:29]
	v_add_f64_e32 v[84:85], v[84:85], v[178:179]
	scratch_load_b64 v[82:83], off, off offset:548 th:TH_LOAD_LU ; 8-byte Folded Reload
	s_wait_loadcnt 0x5
	v_add_f64_e64 v[30:31], v[32:33], -v[30:31]
	v_mul_f64_e32 v[32:33], s[50:51], v[251:252]
	s_wait_loadcnt 0x4
	s_delay_alu instid0(VALU_DEP_1) | instskip(SKIP_2) | instid1(VALU_DEP_1)
	v_add_f64_e64 v[32:33], v[34:35], -v[32:33]
	v_mul_f64_e32 v[34:35], s[48:49], v[233:234]
	s_wait_loadcnt 0x3
	v_add_f64_e64 v[34:35], v[74:75], -v[34:35]
	v_mul_f64_e32 v[74:75], s[56:57], v[221:222]
	s_delay_alu instid0(VALU_DEP_1) | instskip(NEXT) | instid1(VALU_DEP_1)
	v_add_f64_e64 v[74:75], v[176:177], -v[74:75]
	v_add_f64_e32 v[26:27], v[74:75], v[26:27]
	v_mul_f64_e32 v[74:75], s[24:25], v[249:250]
	s_delay_alu instid0(VALU_DEP_2) | instskip(SKIP_1) | instid1(VALU_DEP_2)
	v_add_f64_e32 v[26:27], v[34:35], v[26:27]
	s_wait_loadcnt 0x2
	v_add_f64_e64 v[74:75], v[86:87], -v[74:75]
	v_mul_f64_e32 v[34:35], s[22:23], v[207:208]
	s_delay_alu instid0(VALU_DEP_3) | instskip(SKIP_1) | instid1(VALU_DEP_2)
	v_add_f64_e32 v[26:27], v[32:33], v[26:27]
	v_mul_f64_e32 v[32:33], s[38:39], v[231:232]
	v_add_f64_e32 v[26:27], v[30:31], v[26:27]
	v_mul_f64_e32 v[30:31], s[36:37], v[235:236]
	s_delay_alu instid0(VALU_DEP_2)
	v_add_f64_e32 v[26:27], v[74:75], v[26:27]
	scratch_load_b64 v[74:75], off, off offset:364 th:TH_LOAD_LU ; 8-byte Folded Reload
	s_wait_loadcnt 0x2
	v_add_f64_e32 v[34:35], v[34:35], v[80:81]
	scratch_load_b64 v[80:81], off, off offset:484 th:TH_LOAD_LU ; 8-byte Folded Reload
	v_add_f64_e32 v[30:31], v[30:31], v[170:171]
	v_add_f64_e32 v[28:29], v[34:35], v[28:29]
	scratch_load_b64 v[34:35], off, off offset:516 th:TH_LOAD_LU ; 8-byte Folded Reload
	v_add_f64_e32 v[124:125], v[30:31], v[28:29]
	s_clause 0x1
	scratch_load_b64 v[28:29], off, off offset:668 th:TH_LOAD_LU
	scratch_load_b64 v[30:31], off, off offset:636 th:TH_LOAD_LU
	s_wait_loadcnt 0x3
	v_add_f64_e64 v[32:33], v[80:81], -v[32:33]
	scratch_load_b64 v[80:81], off, off offset:612 th:TH_LOAD_LU ; 8-byte Folded Reload
	v_add_f64_e32 v[126:127], v[32:33], v[26:27]
	scratch_load_b64 v[32:33], off, off offset:572 th:TH_LOAD_LU ; 8-byte Folded Reload
	v_mul_f64_e32 v[26:27], s[38:39], v[223:224]
	s_wait_loadcnt 0x3
	s_delay_alu instid0(VALU_DEP_1) | instskip(SKIP_2) | instid1(VALU_DEP_1)
	v_add_f64_e64 v[26:27], v[28:29], -v[26:27]
	v_mul_f64_e32 v[28:29], s[20:21], v[251:252]
	s_wait_loadcnt 0x2
	v_add_f64_e64 v[28:29], v[30:31], -v[28:29]
	v_mul_f64_e32 v[30:31], s[52:53], v[233:234]
	s_wait_loadcnt 0x0
	s_delay_alu instid0(VALU_DEP_1) | instskip(SKIP_1) | instid1(VALU_DEP_1)
	v_add_f64_e64 v[30:31], v[32:33], -v[30:31]
	v_mul_f64_e32 v[32:33], s[48:49], v[221:222]
	v_add_f64_e64 v[32:33], v[34:35], -v[32:33]
	v_mul_f64_e32 v[34:35], s[42:43], v[209:210]
	s_delay_alu instid0(VALU_DEP_1) | instskip(SKIP_1) | instid1(VALU_DEP_2)
	v_add_f64_e64 v[34:35], v[74:75], -v[34:35]
	v_mul_f64_e32 v[74:75], s[36:37], v[247:248]
	v_add_f64_e32 v[20:21], v[34:35], v[20:21]
	s_delay_alu instid0(VALU_DEP_2) | instskip(SKIP_2) | instid1(VALU_DEP_4)
	v_add_f64_e32 v[74:75], v[74:75], v[80:81]
	v_mul_f64_e32 v[80:81], s[18:19], v[229:230]
	v_mul_f64_e32 v[34:35], s[2:3], v[217:218]
	v_add_f64_e32 v[20:21], v[32:33], v[20:21]
	v_mul_f64_e32 v[32:33], s[58:59], v[249:250]
	s_delay_alu instid0(VALU_DEP_4) | instskip(SKIP_1) | instid1(VALU_DEP_4)
	v_add_f64_e32 v[80:81], v[80:81], v[82:83]
	v_mul_f64_e32 v[82:83], s[40:41], v[201:202]
	v_add_f64_e32 v[20:21], v[30:31], v[20:21]
	v_mul_f64_e32 v[30:31], s[30:31], v[207:208]
	s_delay_alu instid0(VALU_DEP_3) | instskip(NEXT) | instid1(VALU_DEP_3)
	v_add_f64_e32 v[82:83], v[82:83], v[138:139]
	v_add_f64_e32 v[20:21], v[28:29], v[20:21]
	v_mul_f64_e32 v[28:29], s[50:51], v[231:232]
	s_delay_alu instid0(VALU_DEP_3)
	v_add_f64_e32 v[24:25], v[82:83], v[24:25]
	scratch_load_b64 v[82:83], off, off offset:356 th:TH_LOAD_LU ; 8-byte Folded Reload
	v_add_f64_e32 v[20:21], v[26:27], v[20:21]
	v_mul_f64_e32 v[26:27], s[10:11], v[235:236]
	v_add_f64_e32 v[24:25], v[84:85], v[24:25]
	s_wait_loadcnt 0x0
	v_add_f64_e32 v[34:35], v[34:35], v[82:83]
	scratch_load_b64 v[82:83], off, off offset:580 th:TH_LOAD_LU ; 8-byte Folded Reload
	v_add_f64_e32 v[24:25], v[34:35], v[24:25]
	s_delay_alu instid0(VALU_DEP_1)
	v_add_f64_e32 v[24:25], v[80:81], v[24:25]
	scratch_load_b64 v[80:81], off, off offset:348 th:TH_LOAD_LU ; 8-byte Folded Reload
	v_add_f64_e32 v[24:25], v[74:75], v[24:25]
	s_clause 0x1
	scratch_load_b64 v[74:75], off, off offset:620 th:TH_LOAD_LU
	scratch_load_b64 v[34:35], off, off offset:540 th:TH_LOAD_LU
	s_wait_loadcnt 0x3
	v_add_f64_e64 v[32:33], v[82:83], -v[32:33]
	s_delay_alu instid0(VALU_DEP_1)
	v_add_f64_e32 v[20:21], v[32:33], v[20:21]
	s_clause 0x1
	scratch_load_b64 v[32:33], off, off offset:532 th:TH_LOAD_LU
	scratch_load_b64 v[82:83], off, off offset:492 th:TH_LOAD_LU
	s_wait_loadcnt 0x2
	v_add_f64_e32 v[30:31], v[30:31], v[34:35]
	scratch_load_b64 v[34:35], off, off offset:564 th:TH_LOAD_LU ; 8-byte Folded Reload
	v_add_f64_e32 v[24:25], v[30:31], v[24:25]
	scratch_load_b64 v[30:31], off, off offset:596 th:TH_LOAD_LU ; 8-byte Folded Reload
	s_wait_loadcnt 0x1
	v_add_f64_e64 v[28:29], v[34:35], -v[28:29]
	scratch_load_b64 v[34:35], off, off offset:508 th:TH_LOAD_LU ; 8-byte Folded Reload
	v_add_f64_e32 v[130:131], v[28:29], v[20:21]
	scratch_load_b64 v[28:29], off, off offset:644 th:TH_LOAD_LU ; 8-byte Folded Reload
	v_mul_f64_e32 v[20:21], s[54:55], v[223:224]
	s_wait_loadcnt 0x1
	v_add_f64_e32 v[26:27], v[26:27], v[34:35]
	scratch_load_b64 v[34:35], off, off offset:660 th:TH_LOAD_LU ; 8-byte Folded Reload
	v_add_f64_e32 v[128:129], v[26:27], v[24:25]
	s_clause 0x1
	scratch_load_b64 v[24:25], off, off offset:684 th:TH_LOAD_LU
	scratch_load_b64 v[26:27], off, off offset:676 th:TH_LOAD_LU
	s_wait_loadcnt 0x1
	v_add_f64_e64 v[20:21], v[24:25], -v[20:21]
	v_mul_f64_e32 v[24:25], s[42:43], v[251:252]
	s_wait_loadcnt 0x0
	s_delay_alu instid0(VALU_DEP_1) | instskip(SKIP_1) | instid1(VALU_DEP_1)
	v_add_f64_e64 v[24:25], v[26:27], -v[24:25]
	v_mul_f64_e32 v[26:27], s[20:21], v[233:234]
	v_add_f64_e64 v[26:27], v[28:29], -v[26:27]
	v_mul_f64_e32 v[28:29], s[50:51], v[221:222]
	s_delay_alu instid0(VALU_DEP_1) | instskip(SKIP_1) | instid1(VALU_DEP_1)
	v_add_f64_e64 v[28:29], v[30:31], -v[28:29]
	v_mul_f64_e32 v[30:31], s[44:45], v[209:210]
	v_add_f64_e64 v[30:31], v[32:33], -v[30:31]
	v_mul_f64_e32 v[32:33], s[22:23], v[247:248]
	s_delay_alu instid0(VALU_DEP_2) | instskip(NEXT) | instid1(VALU_DEP_2)
	v_add_f64_e32 v[30:31], v[30:31], v[50:51]
	v_add_f64_e32 v[32:33], v[32:33], v[34:35]
	v_mul_f64_e32 v[34:35], s[40:41], v[229:230]
	s_delay_alu instid0(VALU_DEP_3) | instskip(NEXT) | instid1(VALU_DEP_2)
	v_add_f64_e32 v[28:29], v[28:29], v[30:31]
	v_add_f64_e32 v[34:35], v[34:35], v[74:75]
	v_mul_f64_e32 v[74:75], s[36:37], v[201:202]
	s_delay_alu instid0(VALU_DEP_3) | instskip(NEXT) | instid1(VALU_DEP_2)
	v_add_f64_e32 v[26:27], v[26:27], v[28:29]
	v_add_f64_e32 v[74:75], v[74:75], v[80:81]
	v_mul_f64_e32 v[80:81], s[10:11], v[205:206]
	s_delay_alu instid0(VALU_DEP_3) | instskip(NEXT) | instid1(VALU_DEP_3)
	v_add_f64_e32 v[24:25], v[24:25], v[26:27]
	v_add_f64_e32 v[50:51], v[74:75], v[52:53]
	scratch_load_b64 v[74:75], off, off offset:500 th:TH_LOAD_LU ; 8-byte Folded Reload
	v_add_f64_e32 v[80:81], v[80:81], v[82:83]
	v_mul_f64_e32 v[52:53], s[18:19], v[217:218]
	v_add_f64_e32 v[20:21], v[20:21], v[24:25]
	s_delay_alu instid0(VALU_DEP_3) | instskip(SKIP_2) | instid1(VALU_DEP_4)
	v_add_f64_e32 v[30:31], v[80:81], v[50:51]
	v_mul_f64_e32 v[50:51], s[16:17], v[249:250]
	s_wait_loadcnt 0x0
	v_add_f64_e32 v[52:53], v[52:53], v[74:75]
	scratch_load_b64 v[74:75], off, off offset:652 th:TH_LOAD_LU ; 8-byte Folded Reload
	v_add_f64_e32 v[28:29], v[52:53], v[30:31]
	scratch_load_b64 v[52:53], off, off offset:604 th:TH_LOAD_LU ; 8-byte Folded Reload
	v_mul_f64_e32 v[30:31], s[2:3], v[207:208]
	v_add_f64_e32 v[26:27], v[34:35], v[28:29]
	v_mul_f64_e32 v[28:29], s[34:35], v[231:232]
	s_delay_alu instid0(VALU_DEP_2)
	v_add_f64_e32 v[24:25], v[32:33], v[26:27]
	scratch_load_b64 v[32:33], off, off offset:588 th:TH_LOAD_LU ; 8-byte Folded Reload
	v_add_f64_e64 v[28:29], v[180:181], -v[28:29]
	v_mul_f64_e32 v[26:27], s[30:31], v[235:236]
	s_wait_loadcnt 0x2
	v_add_f64_e64 v[50:51], v[74:75], -v[50:51]
	s_wait_loadcnt 0x1
	v_add_f64_e32 v[30:31], v[30:31], v[52:53]
	s_delay_alu instid0(VALU_DEP_2) | instskip(NEXT) | instid1(VALU_DEP_2)
	v_add_f64_e32 v[20:21], v[50:51], v[20:21]
	v_add_f64_e32 v[24:25], v[30:31], v[24:25]
	s_delay_alu instid0(VALU_DEP_2) | instskip(SKIP_4) | instid1(VALU_DEP_3)
	v_add_f64_e32 v[134:135], v[28:29], v[20:21]
	v_mul_f64_e32 v[20:21], s[48:49], v[209:210]
	v_mul_f64_e32 v[30:31], s[16:17], v[221:222]
	s_wait_loadcnt 0x0
	v_add_f64_e32 v[26:27], v[26:27], v[32:33]
	v_fma_f64 v[10:11], v[213:214], s[26:27], v[20:21]
	s_delay_alu instid0(VALU_DEP_3) | instskip(NEXT) | instid1(VALU_DEP_3)
	v_fma_f64 v[32:33], v[225:226], s[2:3], -v[30:31]
	v_add_f64_e32 v[132:133], v[26:27], v[24:25]
	v_fma_f64 v[24:25], v[213:214], s[26:27], -v[20:21]
	v_mul_f64_e32 v[26:27], s[48:49], v[215:216]
	v_add_f64_e32 v[10:11], v[10:11], v[22:23]
	s_delay_alu instid0(VALU_DEP_3) | instskip(NEXT) | instid1(VALU_DEP_3)
	v_add_f64_e32 v[24:25], v[24:25], v[48:49]
	v_fma_f64 v[28:29], v[201:202], s[26:27], v[26:27]
	v_fma_f64 v[22:23], v[201:202], s[26:27], -v[26:27]
	scratch_load_b64 v[26:27], off, off offset:708 th:TH_LOAD_LU ; 8-byte Folded Reload
	v_add_f64_e32 v[24:25], v[32:33], v[24:25]
	v_mul_f64_e32 v[32:33], s[16:17], v[227:228]
	v_add_f64_e32 v[28:29], v[28:29], v[38:39]
	v_add_f64_e32 v[22:23], v[22:23], v[44:45]
	s_delay_alu instid0(VALU_DEP_3) | instskip(NEXT) | instid1(VALU_DEP_1)
	v_fma_f64 v[34:35], v[205:206], s[2:3], v[32:33]
	v_add_f64_e32 v[28:29], v[34:35], v[28:29]
	v_mul_f64_e32 v[34:35], s[38:39], v[233:234]
	s_delay_alu instid0(VALU_DEP_1) | instskip(SKIP_1) | instid1(VALU_DEP_2)
	v_fma_f64 v[38:39], v[239:240], s[36:37], -v[34:35]
	v_fma_f64 v[20:21], v[239:240], s[36:37], v[34:35]
	v_add_f64_e32 v[24:25], v[38:39], v[24:25]
	v_mul_f64_e32 v[38:39], s[38:39], v[237:238]
	s_delay_alu instid0(VALU_DEP_1) | instskip(NEXT) | instid1(VALU_DEP_1)
	v_fma_f64 v[48:49], v[217:218], s[36:37], v[38:39]
	v_add_f64_e32 v[28:29], v[48:49], v[28:29]
	v_mul_f64_e32 v[48:49], s[54:55], v[251:252]
	s_delay_alu instid0(VALU_DEP_1) | instskip(SKIP_1) | instid1(VALU_DEP_2)
	v_fma_f64 v[50:51], v[219:220], s[22:23], -v[48:49]
	v_fma_f64 v[18:19], v[219:220], s[22:23], v[48:49]
	v_add_f64_e32 v[24:25], v[50:51], v[24:25]
	v_mul_f64_e32 v[50:51], s[54:55], v[203:204]
	s_delay_alu instid0(VALU_DEP_1) | instskip(NEXT) | instid1(VALU_DEP_1)
	;; [unrolled: 9-line block ×3, first 2 shown]
	v_fma_f64 v[80:81], v[247:248], s[10:11], v[74:75]
	v_add_f64_e32 v[28:29], v[80:81], v[28:29]
	v_mul_f64_e32 v[80:81], s[42:43], v[249:250]
	s_delay_alu instid0(VALU_DEP_1) | instskip(SKIP_1) | instid1(VALU_DEP_2)
	v_fma_f64 v[82:83], v[243:244], s[40:41], -v[80:81]
	v_fma_f64 v[13:14], v[243:244], s[40:41], v[80:81]
	v_add_f64_e32 v[24:25], v[82:83], v[24:25]
	v_fma_f64 v[82:83], v[207:208], s[40:41], v[76:77]
	s_delay_alu instid0(VALU_DEP_1) | instskip(SKIP_1) | instid1(VALU_DEP_1)
	v_add_f64_e32 v[28:29], v[82:83], v[28:29]
	v_mul_f64_e32 v[82:83], s[46:47], v[231:232]
	v_fma_f64 v[84:85], v[78:79], s[18:19], -v[82:83]
	s_delay_alu instid0(VALU_DEP_1) | instskip(SKIP_2) | instid1(VALU_DEP_2)
	v_add_f64_e32 v[138:139], v[84:85], v[24:25]
	v_fma_f64 v[24:25], v[235:236], s[18:19], v[0:1]
	v_fma_f64 v[0:1], v[235:236], s[18:19], -v[0:1]
	v_add_f64_e32 v[136:137], v[24:25], v[28:29]
	v_fma_f64 v[24:25], v[225:226], s[2:3], v[30:31]
	v_fma_f64 v[28:29], v[78:79], s[18:19], v[82:83]
	s_delay_alu instid0(VALU_DEP_2) | instskip(SKIP_1) | instid1(VALU_DEP_2)
	v_add_f64_e32 v[10:11], v[24:25], v[10:11]
	v_fma_f64 v[24:25], v[205:206], s[2:3], -v[32:33]
	v_add_f64_e32 v[10:11], v[20:21], v[10:11]
	s_delay_alu instid0(VALU_DEP_2) | instskip(SKIP_2) | instid1(VALU_DEP_4)
	v_add_f64_e32 v[22:23], v[24:25], v[22:23]
	v_fma_f64 v[20:21], v[217:218], s[36:37], -v[38:39]
	v_mul_f64_e32 v[24:25], s[10:11], v[201:202]
	v_add_f64_e32 v[10:11], v[18:19], v[10:11]
	v_fma_f64 v[18:19], v[229:230], s[22:23], -v[50:51]
	s_delay_alu instid0(VALU_DEP_4) | instskip(SKIP_1) | instid1(VALU_DEP_4)
	v_add_f64_e32 v[20:21], v[20:21], v[22:23]
	s_wait_loadcnt 0x0
	v_add_f64_e32 v[24:25], v[24:25], v[26:27]
	v_mul_f64_e32 v[26:27], s[18:19], v[205:206]
	v_mul_f64_e32 v[22:23], s[26:27], v[229:230]
	v_add_f64_e32 v[10:11], v[16:17], v[10:11]
	v_fma_f64 v[16:17], v[247:248], s[10:11], -v[74:75]
	v_add_f64_e32 v[18:19], v[18:19], v[20:21]
	v_add_f64_e32 v[24:25], v[24:25], v[46:47]
	;; [unrolled: 1-line block ×4, first 2 shown]
	v_mul_f64_e32 v[20:21], s[30:31], v[247:248]
	v_add_f64_e32 v[10:11], v[13:14], v[10:11]
	v_fma_f64 v[13:14], v[207:208], s[40:41], -v[76:77]
	v_add_f64_e32 v[16:17], v[16:17], v[18:19]
	v_mul_f64_e32 v[18:19], s[14:15], v[209:210]
	v_add_f64_e32 v[20:21], v[20:21], v[156:157]
	v_add_f64_e32 v[78:79], v[28:29], v[10:11]
	v_mul_f64_e32 v[10:11], s[28:29], v[251:252]
	v_add_f64_e32 v[13:14], v[13:14], v[16:17]
	v_mul_f64_e32 v[16:17], s[20:21], v[221:222]
	v_add_f64_e64 v[18:19], v[146:147], -v[18:19]
	v_mul_f64_e32 v[28:29], s[22:23], v[217:218]
	v_add_f64_e64 v[10:11], v[158:159], -v[10:11]
	v_add_f64_e32 v[76:77], v[0:1], v[13:14]
	v_mul_f64_e32 v[13:14], s[24:25], v[233:234]
	v_add_f64_e64 v[16:17], v[150:151], -v[16:17]
	v_add_f64_e32 v[18:19], v[18:19], v[54:55]
	v_mul_f64_e32 v[0:1], s[34:35], v[223:224]
	v_add_f64_e32 v[28:29], v[28:29], v[148:149]
	v_add_f64_e64 v[13:14], v[154:155], -v[13:14]
	s_delay_alu instid0(VALU_DEP_4) | instskip(SKIP_3) | instid1(VALU_DEP_4)
	v_add_f64_e32 v[16:17], v[16:17], v[18:19]
	v_add_f64_e32 v[18:19], v[26:27], v[24:25]
	v_add_f64_e64 v[0:1], v[162:163], -v[0:1]
	v_mul_f64_e32 v[24:25], s[38:39], v[249:250]
	v_add_f64_e32 v[13:14], v[13:14], v[16:17]
	s_delay_alu instid0(VALU_DEP_4) | instskip(SKIP_1) | instid1(VALU_DEP_4)
	v_add_f64_e32 v[16:17], v[28:29], v[18:19]
	v_mul_f64_e32 v[18:19], s[36:37], v[207:208]
	v_add_f64_e64 v[24:25], v[166:167], -v[24:25]
	s_delay_alu instid0(VALU_DEP_4) | instskip(NEXT) | instid1(VALU_DEP_4)
	v_add_f64_e32 v[10:11], v[10:11], v[13:14]
	v_add_f64_e32 v[13:14], v[22:23], v[16:17]
	v_mul_f64_e32 v[16:17], s[42:43], v[231:232]
	v_add_f64_e32 v[18:19], v[18:19], v[160:161]
	s_delay_alu instid0(VALU_DEP_4) | instskip(NEXT) | instid1(VALU_DEP_4)
	v_add_f64_e32 v[0:1], v[0:1], v[10:11]
	v_add_f64_e32 v[10:11], v[20:21], v[13:14]
	s_delay_alu instid0(VALU_DEP_4) | instskip(SKIP_1) | instid1(VALU_DEP_4)
	v_add_f64_e64 v[16:17], v[168:169], -v[16:17]
	v_mul_f64_e32 v[13:14], s[40:41], v[235:236]
	v_add_f64_e32 v[0:1], v[24:25], v[0:1]
	s_delay_alu instid0(VALU_DEP_4) | instskip(NEXT) | instid1(VALU_DEP_3)
	v_add_f64_e32 v[10:11], v[18:19], v[10:11]
	v_add_f64_e32 v[13:14], v[13:14], v[164:165]
	s_delay_alu instid0(VALU_DEP_3) | instskip(SKIP_3) | instid1(VALU_DEP_2)
	v_add_f64_e32 v[146:147], v[16:17], v[0:1]
	scratch_load_b32 v1, off, off offset:8  ; 4-byte Folded Reload
	v_mul_lo_u16 v0, v255, 17
	v_add_f64_e32 v[144:145], v[13:14], v[10:11]
	v_and_b32_e32 v0, 0xffff, v0
	s_wait_loadcnt 0x0
	s_delay_alu instid0(VALU_DEP_1)
	v_lshl_add_u32 v0, v0, 4, v1
	ds_store_b128 v0, v[120:123] offset:32
	ds_store_b128 v0, v[192:195] offset:192
	;; [unrolled: 1-line block ×15, first 2 shown]
	ds_store_b128 v0, v[112:115]
	ds_store_b128 v0, v[172:175] offset:256
.LBB0_17:
	s_wait_alu 0xfffe
	s_or_b32 exec_lo, exec_lo, s1
	global_wb scope:SCOPE_SE
	s_wait_dscnt 0x0
	s_barrier_signal -1
	s_barrier_wait -1
	global_inv scope:SCOPE_SE
	ds_load_b128 v[116:119], v12
	ds_load_b128 v[112:115], v12 offset:1632
	ds_load_b128 v[128:131], v12 offset:3536
	;; [unrolled: 1-line block ×11, first 2 shown]
	s_and_saveexec_b32 s1, s0
	s_cbranch_execz .LBB0_19
; %bb.18:
	ds_load_b128 v[192:195], v12 offset:3264
	ds_load_b128 v[196:199], v12 offset:6800
	ds_load_b128 v[188:191], v12 offset:10336
	ds_load_b128 v[184:187], v12 offset:13872
	ds_load_b128 v[172:175], v12 offset:17408
	ds_load_b128 v[0:3], v12 offset:20944
	s_wait_dscnt 0x0
	scratch_store_b128 off, v[0:3], off offset:12 ; 16-byte Folded Spill
.LBB0_19:
	s_wait_alu 0xfffe
	s_or_b32 exec_lo, exec_lo, s1
	s_clause 0x8
	scratch_load_b128 v[46:49], off, off offset:60 th:TH_LOAD_LU
	scratch_load_b128 v[50:53], off, off offset:28 th:TH_LOAD_LU
	;; [unrolled: 1-line block ×9, first 2 shown]
	s_mov_b32 s2, 0xe8584caa
	s_mov_b32 s3, 0xbfebb67a
	;; [unrolled: 1-line block ×3, first 2 shown]
	s_wait_alu 0xfffe
	s_mov_b32 s10, s2
	s_wait_loadcnt_dscnt 0x809
	v_mul_f64_e32 v[8:9], v[48:49], v[128:129]
	s_wait_loadcnt_dscnt 0x708
	v_mul_f64_e32 v[16:17], v[52:53], v[120:121]
	v_mul_f64_e32 v[32:33], v[52:53], v[122:123]
	scratch_load_b128 v[52:55], off, off offset:44 th:TH_LOAD_LU ; 16-byte Folded Reload
	s_wait_loadcnt_dscnt 0x705
	v_mul_f64_e32 v[0:1], v[36:37], v[152:153]
	s_wait_loadcnt_dscnt 0x601
	v_mul_f64_e32 v[2:3], v[40:41], v[156:157]
	v_mul_f64_e32 v[10:11], v[36:37], v[154:155]
	;; [unrolled: 1-line block ×4, first 2 shown]
	s_wait_loadcnt 0x5
	v_mul_f64_e32 v[26:27], v[66:67], v[136:137]
	s_wait_loadcnt 0x4
	v_mul_f64_e32 v[30:31], v[62:63], v[140:141]
	;; [unrolled: 2-line block ×3, first 2 shown]
	s_wait_loadcnt_dscnt 0x200
	v_mul_f64_e32 v[6:7], v[74:75], v[148:149]
	v_mul_f64_e32 v[18:19], v[70:71], v[146:147]
	s_wait_loadcnt 0x1
	v_mul_f64_e32 v[36:37], v[58:59], v[126:127]
	v_mul_f64_e32 v[24:25], v[66:67], v[138:139]
	;; [unrolled: 1-line block ×3, first 2 shown]
	global_wb scope:SCOPE_SE
	s_wait_loadcnt 0x0
	s_wait_storecnt 0x0
	s_barrier_signal -1
	s_barrier_wait -1
	global_inv scope:SCOPE_SE
	v_mul_f64_e32 v[20:21], v[74:75], v[150:151]
	v_fma_f64 v[8:9], v[46:47], v[130:131], -v[8:9]
	v_fma_f64 v[16:17], v[50:51], v[122:123], -v[16:17]
	v_fma_f64 v[32:33], v[50:51], v[120:121], v[32:33]
	v_fma_f64 v[0:1], v[34:35], v[154:155], -v[0:1]
	v_fma_f64 v[2:3], v[38:39], v[158:159], -v[2:3]
	v_fma_f64 v[10:11], v[34:35], v[152:153], v[10:11]
	v_fma_f64 v[13:14], v[38:39], v[156:157], v[13:14]
	v_mul_f64_e32 v[38:39], v[58:59], v[124:125]
	v_fma_f64 v[26:27], v[64:65], v[138:139], -v[26:27]
	v_fma_f64 v[30:31], v[60:61], v[142:143], -v[30:31]
	v_fma_f64 v[22:23], v[46:47], v[128:129], v[22:23]
	v_fma_f64 v[4:5], v[68:69], v[146:147], -v[4:5]
	v_fma_f64 v[6:7], v[72:73], v[150:151], -v[6:7]
	v_fma_f64 v[18:19], v[68:69], v[144:145], v[18:19]
	v_fma_f64 v[36:37], v[56:57], v[124:125], v[36:37]
	;; [unrolled: 1-line block ×5, first 2 shown]
	v_add_f64_e32 v[34:35], v[0:1], v[2:3]
	v_add_f64_e64 v[58:59], v[0:1], -v[2:3]
	v_add_f64_e32 v[46:47], v[10:11], v[13:14]
	v_add_f64_e64 v[48:49], v[10:11], -v[13:14]
	v_fma_f64 v[38:39], v[56:57], v[126:127], -v[38:39]
	v_add_f64_e32 v[56:57], v[26:27], v[30:31]
	v_add_f64_e64 v[68:69], v[26:27], -v[30:31]
	v_add_f64_e32 v[26:27], v[118:119], v[26:27]
	v_add_f64_e32 v[10:11], v[22:23], v[10:11]
	;; [unrolled: 1-line block ×4, first 2 shown]
	v_add_f64_e64 v[64:65], v[4:5], -v[6:7]
	v_add_f64_e32 v[4:5], v[16:17], v[4:5]
	v_add_f64_e32 v[50:51], v[18:19], v[20:21]
	v_fma_f64 v[34:35], v[34:35], -0.5, v[8:9]
	v_add_f64_e32 v[8:9], v[112:113], v[36:37]
	v_fma_f64 v[46:47], v[46:47], -0.5, v[22:23]
	v_add_f64_e32 v[26:27], v[26:27], v[30:31]
	v_add_f64_e32 v[10:11], v[10:11], v[13:14]
	v_add_f64_e32 v[13:14], v[0:1], v[2:3]
	v_fma_f64 v[44:45], v[44:45], -0.5, v[16:17]
	v_fma_f64 v[50:51], v[50:51], -0.5, v[32:33]
	s_wait_alu 0xfffe
	v_fma_f64 v[60:61], v[48:49], s[10:11], v[34:35]
	v_fma_f64 v[34:35], v[48:49], s[2:3], v[34:35]
	v_add_f64_e32 v[2:3], v[26:27], v[13:14]
	s_delay_alu instid0(VALU_DEP_4) | instskip(SKIP_4) | instid1(VALU_DEP_3)
	v_fma_f64 v[70:71], v[64:65], s[2:3], v[50:51]
	v_fma_f64 v[50:51], v[64:65], s[10:11], v[50:51]
	v_mul_f64_e32 v[40:41], v[54:55], v[134:135]
	v_mul_f64_e32 v[42:43], v[54:55], v[132:133]
	v_add_f64_e32 v[54:55], v[24:25], v[28:29]
	v_fma_f64 v[40:41], v[52:53], v[132:133], v[40:41]
	s_delay_alu instid0(VALU_DEP_3)
	v_fma_f64 v[42:43], v[52:53], v[134:135], -v[42:43]
	v_add_f64_e64 v[52:53], v[18:19], -v[20:21]
	v_add_f64_e32 v[18:19], v[32:33], v[18:19]
	v_fma_f64 v[16:17], v[54:55], -0.5, v[116:117]
	v_fma_f64 v[32:33], v[56:57], -0.5, v[118:119]
	v_fma_f64 v[54:55], v[58:59], s[2:3], v[46:47]
	v_mul_f64_e32 v[56:57], s[2:3], v[60:61]
	v_mul_f64_e32 v[60:61], 0.5, v[60:61]
	v_fma_f64 v[46:47], v[58:59], s[10:11], v[46:47]
	v_mul_f64_e32 v[58:59], s[2:3], v[34:35]
	v_mul_f64_e32 v[34:35], -0.5, v[34:35]
	v_add_f64_e32 v[48:49], v[36:37], v[40:41]
	v_add_f64_e64 v[36:37], v[36:37], -v[40:41]
	v_add_f64_e32 v[30:31], v[8:9], v[40:41]
	v_add_f64_e32 v[40:41], v[4:5], v[6:7]
	v_add_f64_e64 v[6:7], v[26:27], -v[13:14]
	scratch_load_b32 v13, off, off offset:300 th:TH_LOAD_LU ; 4-byte Folded Reload
	v_fma_f64 v[66:67], v[52:53], s[10:11], v[44:45]
	v_fma_f64 v[44:45], v[52:53], s[2:3], v[44:45]
	v_add_f64_e32 v[52:53], v[116:117], v[24:25]
	v_add_f64_e32 v[62:63], v[38:39], v[42:43]
	v_add_f64_e64 v[24:25], v[24:25], -v[28:29]
	v_add_f64_e64 v[22:23], v[38:39], -v[42:43]
	v_add_f64_e32 v[38:39], v[114:115], v[38:39]
	v_add_f64_e32 v[18:19], v[18:19], v[20:21]
	v_fma_f64 v[48:49], v[48:49], -0.5, v[112:113]
	v_mul_f64_e32 v[64:65], s[2:3], v[66:67]
	v_mul_f64_e32 v[66:67], 0.5, v[66:67]
	v_add_f64_e32 v[28:29], v[52:53], v[28:29]
	v_fma_f64 v[62:63], v[62:63], -0.5, v[114:115]
	v_fma_f64 v[52:53], v[24:25], s[10:11], v[32:33]
	v_mul_f64_e32 v[72:73], s[2:3], v[44:45]
	v_add_f64_e32 v[38:39], v[38:39], v[42:43]
	v_fma_f64 v[42:43], v[68:69], s[2:3], v[16:17]
	v_fma_f64 v[16:17], v[68:69], s[10:11], v[16:17]
	;; [unrolled: 1-line block ×3, first 2 shown]
	v_fma_f64 v[32:33], v[54:55], 0.5, v[56:57]
	v_fma_f64 v[54:55], v[54:55], s[10:11], v[60:61]
	v_fma_f64 v[56:57], v[46:47], -0.5, v[58:59]
	v_fma_f64 v[46:47], v[46:47], s[10:11], v[34:35]
	v_add_f64_e32 v[8:9], v[30:31], v[18:19]
	v_add_f64_e64 v[20:21], v[30:31], -v[18:19]
	v_mul_f64_e32 v[44:45], -0.5, v[44:45]
	v_fma_f64 v[58:59], v[22:23], s[2:3], v[48:49]
	v_fma_f64 v[60:61], v[22:23], s[10:11], v[48:49]
	v_fma_f64 v[48:49], v[70:71], 0.5, v[64:65]
	v_fma_f64 v[66:67], v[70:71], s[10:11], v[66:67]
	v_add_f64_e32 v[0:1], v[28:29], v[10:11]
	v_add_f64_e64 v[4:5], v[28:29], -v[10:11]
	v_fma_f64 v[74:75], v[36:37], s[10:11], v[62:63]
	v_fma_f64 v[62:63], v[36:37], s[2:3], v[62:63]
	v_add_f64_e32 v[10:11], v[38:39], v[40:41]
	v_add_f64_e64 v[22:23], v[38:39], -v[40:41]
	v_fma_f64 v[64:65], v[50:51], -0.5, v[72:73]
	v_add_f64_e32 v[24:25], v[42:43], v[32:33]
	v_add_f64_e32 v[26:27], v[52:53], v[54:55]
	;; [unrolled: 1-line block ×4, first 2 shown]
	v_add_f64_e64 v[32:33], v[42:43], -v[32:33]
	v_add_f64_e64 v[34:35], v[52:53], -v[54:55]
	;; [unrolled: 1-line block ×4, first 2 shown]
	v_fma_f64 v[70:71], v[50:51], s[10:11], v[44:45]
	s_wait_loadcnt 0x0
	ds_store_b128 v13, v[0:3]
	ds_store_b128 v13, v[24:27] offset:272
	ds_store_b128 v13, v[28:31] offset:544
	;; [unrolled: 1-line block ×5, first 2 shown]
	scratch_load_b32 v0, off, off offset:276 th:TH_LOAD_LU ; 4-byte Folded Reload
	v_add_f64_e32 v[40:41], v[58:59], v[48:49]
	v_add_f64_e32 v[42:43], v[74:75], v[66:67]
	;; [unrolled: 1-line block ×4, first 2 shown]
	v_add_f64_e64 v[48:49], v[58:59], -v[48:49]
	v_add_f64_e64 v[50:51], v[74:75], -v[66:67]
	;; [unrolled: 1-line block ×4, first 2 shown]
	s_wait_loadcnt 0x0
	ds_store_b128 v0, v[8:11]
	ds_store_b128 v0, v[40:43] offset:272
	ds_store_b128 v0, v[44:47] offset:544
	;; [unrolled: 1-line block ×5, first 2 shown]
	s_and_saveexec_b32 s1, s0
	s_cbranch_execz .LBB0_21
; %bb.20:
	s_clause 0x3
	scratch_load_b128 v[21:24], off, off offset:404 th:TH_LOAD_LU
	scratch_load_b128 v[27:30], off, off offset:436 th:TH_LOAD_LU
	;; [unrolled: 1-line block ×4, first 2 shown]
	s_wait_loadcnt 0x3
	v_mul_f64_e32 v[0:1], v[23:24], v[184:185]
	v_mul_f64_e32 v[4:5], v[23:24], v[186:187]
	scratch_load_b128 v[23:26], off, off offset:420 th:TH_LOAD_LU ; 16-byte Folded Reload
	s_wait_loadcnt 0x2
	v_mul_f64_e32 v[2:3], v[29:30], v[37:38]
	v_mul_f64_e32 v[6:7], v[29:30], v[39:40]
	scratch_load_b128 v[29:32], off, off offset:452 th:TH_LOAD_LU ; 16-byte Folded Reload
	s_wait_loadcnt 0x2
	v_mul_f64_e32 v[10:11], v[35:36], v[188:189]
	v_mul_f64_e32 v[15:16], v[35:36], v[190:191]
	v_fma_f64 v[0:1], v[21:22], v[186:187], -v[0:1]
	v_fma_f64 v[4:5], v[21:22], v[184:185], v[4:5]
	v_fma_f64 v[2:3], v[27:28], v[39:40], -v[2:3]
	v_fma_f64 v[6:7], v[27:28], v[37:38], v[6:7]
	;; [unrolled: 2-line block ×3, first 2 shown]
	s_delay_alu instid0(VALU_DEP_4) | instskip(NEXT) | instid1(VALU_DEP_3)
	v_add_f64_e32 v[21:22], v[0:1], v[2:3]
	v_add_f64_e32 v[35:36], v[194:195], v[10:11]
	s_wait_loadcnt 0x1
	v_mul_f64_e32 v[8:9], v[25:26], v[196:197]
	v_mul_f64_e32 v[19:20], v[25:26], v[198:199]
	v_add_f64_e64 v[25:26], v[4:5], -v[6:7]
	s_wait_loadcnt 0x0
	v_mul_f64_e32 v[13:14], v[31:32], v[172:173]
	v_mul_f64_e32 v[17:18], v[31:32], v[174:175]
	v_fma_f64 v[8:9], v[23:24], v[198:199], -v[8:9]
	v_fma_f64 v[19:20], v[23:24], v[196:197], v[19:20]
	v_add_f64_e32 v[23:24], v[4:5], v[6:7]
	v_fma_f64 v[13:14], v[29:30], v[174:175], -v[13:14]
	v_fma_f64 v[17:18], v[29:30], v[172:173], v[17:18]
	v_add_f64_e64 v[29:30], v[0:1], -v[2:3]
	v_fma_f64 v[21:22], v[21:22], -0.5, v[8:9]
	v_add_f64_e32 v[0:1], v[8:9], v[0:1]
	v_fma_f64 v[23:24], v[23:24], -0.5, v[19:20]
	v_add_f64_e32 v[27:28], v[10:11], v[13:14]
	v_add_f64_e32 v[31:32], v[15:16], v[17:18]
	v_add_f64_e64 v[8:9], v[10:11], -v[13:14]
	v_add_f64_e32 v[10:11], v[192:193], v[15:16]
	v_add_f64_e32 v[4:5], v[19:20], v[4:5]
	;; [unrolled: 1-line block ×3, first 2 shown]
	v_fma_f64 v[33:34], v[25:26], s[2:3], v[21:22]
	v_fma_f64 v[21:22], v[25:26], s[10:11], v[21:22]
	v_add_f64_e64 v[25:26], v[15:16], -v[17:18]
	v_fma_f64 v[15:16], v[27:28], -0.5, v[194:195]
	v_fma_f64 v[27:28], v[29:30], s[10:11], v[23:24]
	v_fma_f64 v[23:24], v[29:30], s[2:3], v[23:24]
	v_fma_f64 v[19:20], v[31:32], -0.5, v[192:193]
	v_add_f64_e32 v[35:36], v[0:1], v[2:3]
	v_add_f64_e32 v[10:11], v[10:11], v[17:18]
	;; [unrolled: 1-line block ×3, first 2 shown]
	v_mul_f64_e32 v[31:32], -0.5, v[33:34]
	v_mul_f64_e32 v[29:30], 0.5, v[21:22]
	v_mul_f64_e32 v[21:22], s[2:3], v[21:22]
	v_fma_f64 v[17:18], v[25:26], s[2:3], v[15:16]
	v_fma_f64 v[25:26], v[25:26], s[10:11], v[15:16]
	v_mul_f64_e32 v[33:34], s[2:3], v[33:34]
	v_fma_f64 v[37:38], v[8:9], s[10:11], v[19:20]
	v_fma_f64 v[8:9], v[8:9], s[2:3], v[19:20]
	v_add_f64_e64 v[2:3], v[13:14], -v[35:36]
	v_add_f64_e32 v[6:7], v[13:14], v[35:36]
	v_add_f64_e64 v[0:1], v[10:11], -v[4:5]
	v_add_f64_e32 v[4:5], v[10:11], v[4:5]
	v_fma_f64 v[15:16], v[27:28], s[10:11], v[31:32]
	v_fma_f64 v[29:30], v[23:24], s[10:11], v[29:30]
	v_fma_f64 v[22:23], v[23:24], 0.5, v[21:22]
	v_fma_f64 v[27:28], v[27:28], -0.5, v[33:34]
	s_delay_alu instid0(VALU_DEP_4) | instskip(NEXT) | instid1(VALU_DEP_4)
	v_add_f64_e64 v[10:11], v[17:18], -v[15:16]
	v_add_f64_e32 v[20:21], v[25:26], v[29:30]
	v_add_f64_e64 v[24:25], v[25:26], -v[29:30]
	s_clause 0x1
	scratch_load_b32 v13, off, off offset:8 th:TH_LOAD_LU
	scratch_load_b32 v26, off, off offset:252 th:TH_LOAD_LU
	v_add_f64_e32 v[16:17], v[17:18], v[15:16]
	v_add_f64_e32 v[18:19], v[8:9], v[22:23]
	;; [unrolled: 1-line block ×3, first 2 shown]
	v_add_f64_e64 v[22:23], v[8:9], -v[22:23]
	v_add_f64_e64 v[8:9], v[37:38], -v[27:28]
	s_wait_loadcnt 0x0
	v_lshl_add_u32 v13, v26, 4, v13
	ds_store_b128 v13, v[4:7] offset:19584
	ds_store_b128 v13, v[18:21] offset:19856
	;; [unrolled: 1-line block ×6, first 2 shown]
.LBB0_21:
	s_wait_alu 0xfffe
	s_or_b32 exec_lo, exec_lo, s1
	global_wb scope:SCOPE_SE
	s_wait_dscnt 0x0
	s_barrier_signal -1
	s_barrier_wait -1
	global_inv scope:SCOPE_SE
	ds_load_b128 v[4:7], v12 offset:1632
	ds_load_b128 v[13:16], v12 offset:19584
	;; [unrolled: 1-line block ×4, first 2 shown]
	ds_load_b128 v[0:3], v12
	ds_load_b128 v[25:28], v12 offset:4896
	scratch_load_b128 v[112:115], off, off offset:156 th:TH_LOAD_LU ; 16-byte Folded Reload
	ds_load_b128 v[29:32], v12 offset:16320
	ds_load_b128 v[33:36], v12 offset:6528
	;; [unrolled: 1-line block ×3, first 2 shown]
	s_mov_b32 s14, 0x4267c47c
	s_mov_b32 s16, 0xe00740e9
	;; [unrolled: 1-line block ×19, first 2 shown]
	s_wait_dscnt 0x0
	v_mul_f64_e32 v[82:83], v[102:103], v[39:40]
	v_mul_f64_e32 v[88:89], v[102:103], v[37:38]
	s_mov_b32 s39, 0xbfe7f3cc
	s_mov_b32 s42, 0x4bc48dbf
	;; [unrolled: 1-line block ×7, first 2 shown]
	s_wait_alu 0xfffe
	s_mov_b32 s0, s14
	s_mov_b32 s2, s10
	;; [unrolled: 1-line block ×10, first 2 shown]
	s_wait_loadcnt 0x0
	v_mul_f64_e32 v[8:9], v[114:115], v[6:7]
	v_mul_f64_e32 v[10:11], v[114:115], v[4:5]
	scratch_load_b128 v[114:117], off, off offset:204 th:TH_LOAD_LU ; 16-byte Folded Reload
	ds_load_b128 v[41:44], v12 offset:9792
	ds_load_b128 v[45:48], v12 offset:11424
	;; [unrolled: 1-line block ×4, first 2 shown]
	s_clause 0x3
	scratch_load_b128 v[126:129], off, off offset:260 th:TH_LOAD_LU
	scratch_load_b128 v[132:135], off, off offset:308 th:TH_LOAD_LU
	;; [unrolled: 1-line block ×4, first 2 shown]
	s_wait_dscnt 0x3
	v_mul_f64_e32 v[90:91], v[98:99], v[43:44]
	v_mul_f64_e32 v[98:99], v[98:99], v[41:42]
	s_wait_dscnt 0x1
	v_mul_f64_e32 v[92:93], v[110:111], v[56:57]
	v_mul_f64_e32 v[94:95], v[110:111], v[54:55]
	;; [unrolled: 1-line block ×4, first 2 shown]
	v_fma_f64 v[110:111], v[112:113], v[4:5], v[8:9]
	v_fma_f64 v[112:113], v[112:113], v[6:7], -v[10:11]
	s_wait_loadcnt 0x4
	v_mul_f64_e32 v[49:50], v[116:117], v[13:14]
	v_mul_f64_e32 v[68:69], v[116:117], v[15:16]
	s_wait_loadcnt 0x3
	v_mul_f64_e32 v[66:67], v[128:129], v[27:28]
	v_mul_f64_e32 v[70:71], v[128:129], v[25:26]
	scratch_load_b128 v[128:131], off, off offset:284 th:TH_LOAD_LU ; 16-byte Folded Reload
	s_wait_loadcnt 0x3
	v_mul_f64_e32 v[74:75], v[134:135], v[35:36]
	v_mul_f64_e32 v[80:81], v[134:135], v[33:34]
	scratch_load_b128 v[134:137], off, off offset:324 th:TH_LOAD_LU ; 16-byte Folded Reload
	s_wait_loadcnt 0x3
	v_mul_f64_e32 v[51:52], v[120:121], v[17:18]
	v_mul_f64_e32 v[64:65], v[120:121], v[19:20]
	s_wait_loadcnt 0x2
	v_mul_f64_e32 v[62:63], v[124:125], v[21:22]
	v_mul_f64_e32 v[72:73], v[124:125], v[23:24]
	v_fma_f64 v[4:5], v[114:115], v[15:16], -v[49:50]
	v_fma_f64 v[6:7], v[114:115], v[13:14], v[68:69]
	v_fma_f64 v[49:50], v[118:119], v[19:20], -v[51:52]
	v_fma_f64 v[51:52], v[118:119], v[17:18], v[64:65]
	v_fma_f64 v[64:65], v[126:127], v[27:28], -v[70:71]
	v_fma_f64 v[8:9], v[122:123], v[23:24], -v[62:63]
	v_fma_f64 v[62:63], v[126:127], v[25:26], v[66:67]
	v_fma_f64 v[26:27], v[104:105], v[45:46], v[102:103]
	v_fma_f64 v[24:25], v[104:105], v[47:48], -v[106:107]
	v_fma_f64 v[10:11], v[122:123], v[21:22], v[72:73]
	v_fma_f64 v[22:23], v[108:109], v[54:55], v[92:93]
	v_fma_f64 v[20:21], v[108:109], v[56:57], -v[94:95]
	v_add_f64_e32 v[46:47], v[112:113], v[4:5]
	v_add_f64_e64 v[53:54], v[49:50], -v[8:9]
	v_add_f64_e32 v[55:56], v[49:50], v[8:9]
	v_add_f64_e32 v[66:67], v[51:52], v[10:11]
	v_add_f64_e64 v[68:69], v[51:52], -v[10:11]
	v_mul_f64_e32 v[104:105], s[18:19], v[46:47]
	v_mul_f64_e32 v[108:109], s[22:23], v[46:47]
	;; [unrolled: 1-line block ×8, first 2 shown]
	s_delay_alu instid0(VALU_DEP_3) | instskip(SKIP_1) | instid1(VALU_DEP_3)
	v_fma_f64 v[207:208], v[66:67], s[30:31], v[122:123]
	s_wait_alu 0xfffe
	v_fma_f64 v[209:210], v[68:69], s[34:35], v[124:125]
	v_fma_f64 v[122:123], v[66:67], s[30:31], -v[122:123]
	s_delay_alu instid0(VALU_DEP_4)
	v_fma_f64 v[211:212], v[66:67], s[44:45], v[126:127]
	v_fma_f64 v[124:125], v[68:69], s[28:29], v[124:125]
	v_fma_f64 v[126:127], v[66:67], s[44:45], -v[126:127]
	s_wait_loadcnt 0x1
	v_mul_f64_e32 v[76:77], v[130:131], v[31:32]
	v_mul_f64_e32 v[78:79], v[130:131], v[29:30]
	;; [unrolled: 1-line block ×3, first 2 shown]
	s_wait_loadcnt_dscnt 0x0
	v_mul_f64_e32 v[84:85], v[136:137], v[60:61]
	v_mul_f64_e32 v[86:87], v[136:137], v[58:59]
	;; [unrolled: 1-line block ×3, first 2 shown]
	v_fma_f64 v[14:15], v[128:129], v[29:30], v[76:77]
	v_fma_f64 v[12:13], v[128:129], v[31:32], -v[78:79]
	v_fma_f64 v[28:29], v[132:133], v[33:34], v[74:75]
	v_fma_f64 v[30:31], v[132:133], v[35:36], -v[80:81]
	;; [unrolled: 2-line block ×4, first 2 shown]
	v_add_f64_e32 v[40:41], v[0:1], v[110:111]
	v_add_f64_e32 v[42:43], v[2:3], v[112:113]
	v_fma_f64 v[18:19], v[134:135], v[58:59], v[84:85]
	v_fma_f64 v[16:17], v[134:135], v[60:61], -v[86:87]
	v_add_f64_e64 v[44:45], v[112:113], -v[4:5]
	v_add_f64_e32 v[57:58], v[110:111], v[6:7]
	v_add_f64_e64 v[59:60], v[110:111], -v[6:7]
	v_mul_f64_e32 v[100:101], s[16:17], v[46:47]
	v_mul_f64_e32 v[112:113], s[30:31], v[46:47]
	;; [unrolled: 1-line block ×8, first 2 shown]
	v_fma_f64 v[215:216], v[66:67], s[38:39], v[130:131]
	v_fma_f64 v[221:222], v[68:69], s[20:21], v[136:137]
	;; [unrolled: 1-line block ×3, first 2 shown]
	v_fma_f64 v[130:131], v[66:67], s[38:39], -v[130:131]
	v_add_f64_e32 v[70:71], v[62:63], v[14:15]
	v_add_f64_e32 v[72:73], v[64:65], v[12:13]
	v_add_f64_e64 v[76:77], v[64:65], -v[12:13]
	v_add_f64_e64 v[74:75], v[62:63], -v[14:15]
	v_add_f64_e32 v[86:87], v[32:33], v[22:23]
	v_add_f64_e32 v[88:89], v[34:35], v[20:21]
	;; [unrolled: 1-line block ×3, first 2 shown]
	v_add_f64_e64 v[96:97], v[36:37], -v[26:27]
	v_add_f64_e32 v[40:41], v[40:41], v[51:52]
	v_add_f64_e32 v[42:43], v[42:43], v[49:50]
	;; [unrolled: 1-line block ×4, first 2 shown]
	v_add_f64_e64 v[82:83], v[28:29], -v[18:19]
	v_add_f64_e64 v[84:85], v[30:31], -v[16:17]
	v_mul_f64_e32 v[48:49], s[14:15], v[44:45]
	v_mul_f64_e32 v[102:103], s[10:11], v[44:45]
	;; [unrolled: 1-line block ×6, first 2 shown]
	v_fma_f64 v[188:189], v[59:60], s[0:1], v[100:101]
	v_fma_f64 v[100:101], v[59:60], s[14:15], v[100:101]
	;; [unrolled: 1-line block ×16, first 2 shown]
	v_fma_f64 v[134:135], v[66:67], s[22:23], -v[134:135]
	v_fma_f64 v[223:224], v[66:67], s[16:17], v[53:54]
	v_fma_f64 v[225:226], v[68:69], s[14:15], v[55:56]
	v_mul_f64_e32 v[140:141], s[22:23], v[72:73]
	v_mul_f64_e32 v[138:139], s[20:21], v[76:77]
	;; [unrolled: 1-line block ×7, first 2 shown]
	v_add_f64_e32 v[40:41], v[40:41], v[62:63]
	v_add_f64_e32 v[42:43], v[42:43], v[64:65]
	v_mul_f64_e32 v[152:153], s[16:17], v[72:73]
	v_mul_f64_e32 v[154:155], s[10:11], v[76:77]
	;; [unrolled: 1-line block ×4, first 2 shown]
	v_fma_f64 v[186:187], v[57:58], s[16:17], v[48:49]
	v_fma_f64 v[190:191], v[57:58], s[18:19], v[102:103]
	v_fma_f64 v[48:49], v[57:58], s[16:17], -v[48:49]
	v_fma_f64 v[102:103], v[57:58], s[18:19], -v[102:103]
	v_fma_f64 v[194:195], v[57:58], s[22:23], v[106:107]
	v_fma_f64 v[106:107], v[57:58], s[22:23], -v[106:107]
	v_fma_f64 v[198:199], v[57:58], s[30:31], v[110:111]
	v_fma_f64 v[110:111], v[57:58], s[30:31], -v[110:111]
	v_add_f64_e32 v[100:101], v[2:3], v[100:101]
	v_add_f64_e32 v[192:193], v[2:3], v[192:193]
	;; [unrolled: 1-line block ×7, first 2 shown]
	v_mul_f64_e32 v[72:73], s[38:39], v[72:73]
	v_add_f64_e32 v[116:117], v[2:3], v[116:117]
	v_add_f64_e32 v[205:206], v[2:3], v[205:206]
	v_fma_f64 v[53:54], v[66:67], s[16:17], -v[53:54]
	v_fma_f64 v[55:56], v[68:69], s[0:1], v[55:56]
	v_add_f64_e32 v[188:189], v[2:3], v[188:189]
	v_add_f64_e32 v[51:52], v[38:39], v[24:25]
	v_add_f64_e64 v[98:99], v[38:39], -v[24:25]
	v_add_f64_e64 v[90:91], v[32:33], -v[22:23]
	;; [unrolled: 1-line block ×3, first 2 shown]
	v_mul_f64_e32 v[156:157], s[28:29], v[84:85]
	v_mul_f64_e32 v[63:64], s[40:41], v[84:85]
	;; [unrolled: 1-line block ×3, first 2 shown]
	v_fma_f64 v[227:228], v[74:75], s[36:37], v[144:145]
	v_mul_f64_e32 v[162:163], s[0:1], v[84:85]
	v_mul_f64_e32 v[164:165], s[16:17], v[80:81]
	v_fma_f64 v[229:230], v[74:75], s[28:29], v[148:149]
	v_add_f64_e32 v[28:29], v[40:41], v[28:29]
	v_add_f64_e32 v[30:31], v[42:43], v[30:31]
	v_fma_f64 v[40:41], v[59:60], s[28:29], v[112:113]
	v_fma_f64 v[112:113], v[57:58], s[38:39], v[114:115]
	v_fma_f64 v[114:115], v[57:58], s[38:39], -v[114:115]
	v_fma_f64 v[42:43], v[57:58], s[44:45], v[44:45]
	v_fma_f64 v[44:45], v[57:58], s[44:45], -v[44:45]
	v_fma_f64 v[57:58], v[66:67], s[18:19], v[118:119]
	v_fma_f64 v[59:60], v[68:69], s[2:3], v[120:121]
	v_fma_f64 v[120:121], v[68:69], s[10:11], v[120:121]
	v_add_f64_e32 v[186:187], v[0:1], v[186:187]
	v_add_f64_e32 v[190:191], v[0:1], v[190:191]
	v_fma_f64 v[118:119], v[66:67], s[18:19], -v[118:119]
	v_add_f64_e32 v[48:49], v[0:1], v[48:49]
	v_add_f64_e32 v[102:103], v[0:1], v[102:103]
	;; [unrolled: 1-line block ×6, first 2 shown]
	v_fma_f64 v[65:66], v[70:71], s[22:23], v[138:139]
	v_fma_f64 v[67:68], v[74:75], s[24:25], v[140:141]
	v_add_f64_e32 v[192:193], v[209:210], v[192:193]
	v_fma_f64 v[138:139], v[70:71], s[22:23], -v[138:139]
	v_add_f64_e32 v[196:197], v[213:214], v[196:197]
	v_mul_f64_e32 v[158:159], s[30:31], v[80:81]
	v_mul_f64_e32 v[166:167], s[20:21], v[84:85]
	;; [unrolled: 1-line block ×7, first 2 shown]
	v_fma_f64 v[144:145], v[74:75], s[42:43], v[144:145]
	v_fma_f64 v[148:149], v[74:75], s[34:35], v[148:149]
	;; [unrolled: 1-line block ×4, first 2 shown]
	v_add_f64_e32 v[104:105], v[124:125], v[104:105]
	v_add_f64_e32 v[108:109], v[128:129], v[108:109]
	;; [unrolled: 1-line block ×11, first 2 shown]
	v_fma_f64 v[32:33], v[74:75], s[20:21], v[140:141]
	v_fma_f64 v[140:141], v[70:71], s[44:45], v[142:143]
	v_add_f64_e32 v[57:58], v[57:58], v[186:187]
	v_add_f64_e32 v[100:101], v[120:121], v[100:101]
	;; [unrolled: 1-line block ×3, first 2 shown]
	v_fma_f64 v[142:143], v[70:71], s[44:45], -v[142:143]
	v_fma_f64 v[34:35], v[70:71], s[30:31], v[146:147]
	v_add_f64_e32 v[48:49], v[118:119], v[48:49]
	v_add_f64_e32 v[102:103], v[122:123], v[102:103]
	;; [unrolled: 1-line block ×3, first 2 shown]
	v_fma_f64 v[146:147], v[70:71], s[30:31], -v[146:147]
	v_add_f64_e32 v[106:107], v[126:127], v[106:107]
	v_add_f64_e32 v[198:199], v[215:216], v[198:199]
	v_fma_f64 v[152:153], v[74:75], s[0:1], v[152:153]
	v_fma_f64 v[235:236], v[70:71], s[18:19], v[154:155]
	;; [unrolled: 1-line block ×3, first 2 shown]
	v_add_f64_e32 v[203:204], v[221:222], v[203:204]
	v_fma_f64 v[154:155], v[70:71], s[18:19], -v[154:155]
	v_fma_f64 v[61:62], v[74:75], s[10:11], v[61:62]
	v_fma_f64 v[239:240], v[70:71], s[38:39], v[76:77]
	;; [unrolled: 1-line block ×3, first 2 shown]
	v_add_f64_e32 v[116:117], v[136:137], v[116:117]
	v_fma_f64 v[150:151], v[70:71], s[16:17], -v[150:151]
	v_fma_f64 v[69:70], v[70:71], s[38:39], -v[76:77]
	v_fma_f64 v[71:72], v[74:75], s[26:27], v[72:73]
	v_add_f64_e32 v[110:111], v[130:131], v[110:111]
	v_add_f64_e32 v[59:60], v[59:60], v[188:189]
	v_mul_f64_e32 v[178:179], s[24:25], v[92:93]
	v_mul_f64_e32 v[180:181], s[22:23], v[88:89]
	v_fma_f64 v[73:74], v[78:79], s[30:31], v[156:157]
	v_add_f64_e32 v[28:29], v[28:29], v[36:37]
	v_add_f64_e32 v[30:31], v[30:31], v[38:39]
	;; [unrolled: 1-line block ×9, first 2 shown]
	v_fma_f64 v[243:244], v[78:79], s[38:39], v[63:64]
	v_fma_f64 v[245:246], v[82:83], s[26:27], v[160:161]
	v_add_f64_e32 v[56:57], v[65:66], v[57:58]
	v_add_f64_e32 v[32:33], v[32:33], v[100:101]
	;; [unrolled: 1-line block ×4, first 2 shown]
	v_mul_f64_e32 v[182:183], s[10:11], v[92:93]
	v_mul_f64_e32 v[184:185], s[18:19], v[88:89]
	v_fma_f64 v[63:64], v[78:79], s[38:39], -v[63:64]
	v_fma_f64 v[247:248], v[78:79], s[16:17], v[162:163]
	v_fma_f64 v[249:250], v[82:83], s[14:15], v[164:165]
	v_add_f64_e32 v[48:49], v[138:139], v[48:49]
	v_add_f64_e32 v[102:103], v[142:143], v[102:103]
	;; [unrolled: 1-line block ×4, first 2 shown]
	v_fma_f64 v[75:76], v[82:83], s[34:35], v[158:159]
	v_fma_f64 v[156:157], v[78:79], s[30:31], -v[156:157]
	v_fma_f64 v[158:159], v[82:83], s[28:29], v[158:159]
	v_fma_f64 v[160:161], v[82:83], s[40:41], v[160:161]
	v_fma_f64 v[162:163], v[78:79], s[16:17], -v[162:163]
	v_fma_f64 v[164:165], v[82:83], s[0:1], v[164:165]
	v_fma_f64 v[251:252], v[78:79], s[22:23], v[166:167]
	v_fma_f64 v[36:37], v[82:83], s[24:25], v[168:169]
	v_fma_f64 v[166:167], v[78:79], s[22:23], -v[166:167]
	v_fma_f64 v[168:169], v[82:83], s[20:21], v[168:169]
	;; [unrolled: 4-line block ×3, first 2 shown]
	v_add_f64_e32 v[26:27], v[28:29], v[26:27]
	v_add_f64_e32 v[24:25], v[30:31], v[24:25]
	v_fma_f64 v[172:173], v[78:79], s[18:19], v[84:85]
	v_fma_f64 v[77:78], v[78:79], s[18:19], -v[84:85]
	v_fma_f64 v[84:85], v[82:83], s[10:11], v[80:81]
	v_fma_f64 v[79:80], v[82:83], s[2:3], v[80:81]
	v_mul_f64_e32 v[81:82], s[36:37], v[92:93]
	v_mul_f64_e32 v[186:187], s[44:45], v[88:89]
	v_add_f64_e32 v[104:105], v[144:145], v[104:105]
	v_add_f64_e32 v[106:107], v[146:147], v[106:107]
	;; [unrolled: 1-line block ×5, first 2 shown]
	v_mul_f64_e32 v[118:119], s[0:1], v[92:93]
	v_mul_f64_e32 v[120:121], s[16:17], v[88:89]
	v_add_f64_e32 v[40:41], v[152:153], v[40:41]
	v_add_f64_e32 v[112:113], v[235:236], v[112:113]
	;; [unrolled: 1-line block ×3, first 2 shown]
	v_mul_f64_e32 v[174:175], s[26:27], v[92:93]
	v_mul_f64_e32 v[176:177], s[38:39], v[88:89]
	;; [unrolled: 1-line block ×4, first 2 shown]
	v_add_f64_e32 v[114:115], v[154:155], v[114:115]
	v_add_f64_e32 v[61:62], v[61:62], v[116:117]
	;; [unrolled: 1-line block ×8, first 2 shown]
	v_mul_f64_e32 v[28:29], s[0:1], v[98:99]
	v_mul_f64_e32 v[122:123], s[16:17], v[51:52]
	v_fma_f64 v[130:131], v[86:87], s[22:23], v[178:179]
	v_fma_f64 v[132:133], v[90:91], s[20:21], v[180:181]
	v_add_f64_e32 v[56:57], v[73:74], v[56:57]
	v_add_f64_e32 v[65:66], v[243:244], v[65:66]
	;; [unrolled: 1-line block ×3, first 2 shown]
	v_mul_f64_e32 v[209:210], s[44:45], v[51:52]
	v_add_f64_e32 v[22:23], v[26:27], v[22:23]
	v_add_f64_e32 v[20:21], v[24:25], v[20:21]
	v_mul_f64_e32 v[30:31], s[26:27], v[98:99]
	v_mul_f64_e32 v[124:125], s[38:39], v[51:52]
	;; [unrolled: 1-line block ×5, first 2 shown]
	v_fma_f64 v[26:27], v[86:87], s[18:19], v[182:183]
	v_fma_f64 v[52:53], v[90:91], s[2:3], v[184:185]
	v_add_f64_e32 v[63:64], v[63:64], v[102:103]
	v_add_f64_e32 v[34:35], v[247:248], v[34:35]
	;; [unrolled: 1-line block ×3, first 2 shown]
	v_mul_f64_e32 v[207:208], s[42:43], v[98:99]
	v_mul_f64_e32 v[211:212], s[2:3], v[98:99]
	;; [unrolled: 1-line block ×4, first 2 shown]
	v_fma_f64 v[178:179], v[86:87], s[22:23], -v[178:179]
	v_fma_f64 v[180:181], v[90:91], s[24:25], v[180:181]
	v_fma_f64 v[54:55], v[86:87], s[18:19], -v[182:183]
	v_fma_f64 v[136:137], v[86:87], s[44:45], v[81:82]
	v_fma_f64 v[182:183], v[90:91], s[42:43], v[186:187]
	v_add_f64_e32 v[100:101], v[160:161], v[104:105]
	v_add_f64_e32 v[104:105], v[162:163], v[106:107]
	;; [unrolled: 1-line block ×5, first 2 shown]
	v_fma_f64 v[24:25], v[90:91], s[10:11], v[184:185]
	v_fma_f64 v[184:185], v[90:91], s[36:37], v[186:187]
	;; [unrolled: 1-line block ×4, first 2 shown]
	v_add_f64_e32 v[40:41], v[168:169], v[40:41]
	v_add_f64_e32 v[38:39], v[38:39], v[112:113]
	;; [unrolled: 1-line block ×3, first 2 shown]
	v_fma_f64 v[118:119], v[86:87], s[16:17], -v[118:119]
	v_fma_f64 v[69:70], v[90:91], s[34:35], v[88:89]
	v_add_f64_e32 v[46:47], v[46:47], v[114:115]
	v_add_f64_e32 v[42:43], v[172:173], v[42:43]
	;; [unrolled: 1-line block ×5, first 2 shown]
	v_fma_f64 v[22:23], v[86:87], s[30:31], v[92:93]
	v_fma_f64 v[215:216], v[86:87], s[38:39], v[174:175]
	v_fma_f64 v[174:175], v[86:87], s[38:39], -v[174:175]
	v_fma_f64 v[71:72], v[86:87], s[30:31], -v[92:93]
	v_fma_f64 v[20:21], v[90:91], s[28:29], v[88:89]
	v_add_f64_e32 v[48:49], v[156:157], v[48:49]
	v_add_f64_e32 v[0:1], v[77:78], v[0:1]
	;; [unrolled: 1-line block ×3, first 2 shown]
	v_fma_f64 v[120:121], v[90:91], s[0:1], v[120:121]
	v_add_f64_e32 v[60:61], v[170:171], v[61:62]
	v_fma_f64 v[217:218], v[90:91], s[40:41], v[176:177]
	v_fma_f64 v[176:177], v[90:91], s[26:27], v[176:177]
	v_fma_f64 v[81:82], v[86:87], s[44:45], -v[81:82]
	v_add_f64_e32 v[32:33], v[158:159], v[32:33]
	v_add_f64_e32 v[110:111], v[166:167], v[110:111]
	v_fma_f64 v[90:91], v[94:95], s[16:17], v[28:29]
	v_fma_f64 v[92:93], v[96:97], s[14:15], v[122:123]
	v_add_f64_e32 v[65:66], v[130:131], v[65:66]
	v_add_f64_e32 v[73:74], v[132:133], v[73:74]
	v_fma_f64 v[134:135], v[94:95], s[38:39], v[30:31]
	v_fma_f64 v[146:147], v[96:97], s[40:41], v[124:125]
	v_add_f64_e32 v[26:27], v[26:27], v[34:35]
	v_add_f64_e32 v[34:35], v[52:53], v[102:103]
	v_fma_f64 v[67:68], v[94:95], s[44:45], v[207:208]
	v_fma_f64 v[86:87], v[94:95], s[44:45], -v[207:208]
	v_fma_f64 v[28:29], v[94:95], s[16:17], -v[28:29]
	v_fma_f64 v[77:78], v[96:97], s[10:11], v[213:214]
	v_fma_f64 v[79:80], v[94:95], s[18:19], -v[211:212]
	v_fma_f64 v[112:113], v[94:95], s[30:31], -v[126:127]
	v_fma_f64 v[116:117], v[94:95], s[22:23], v[98:99]
	v_add_f64_e32 v[62:63], v[178:179], v[63:64]
	v_add_f64_e32 v[36:37], v[182:183], v[36:37]
	;; [unrolled: 1-line block ×9, first 2 shown]
	v_fma_f64 v[18:19], v[94:95], s[38:39], -v[30:31]
	v_fma_f64 v[30:31], v[94:95], s[18:19], v[211:212]
	v_fma_f64 v[58:59], v[94:95], s[30:31], v[126:127]
	v_fma_f64 v[94:95], v[94:95], s[22:23], -v[98:99]
	v_add_f64_e32 v[98:99], v[180:181], v[100:101]
	v_add_f64_e32 v[100:101], v[136:137], v[108:109]
	v_fma_f64 v[75:76], v[96:97], s[34:35], v[128:129]
	v_fma_f64 v[126:127], v[96:97], s[20:21], v[50:51]
	v_add_f64_e32 v[42:43], v[22:23], v[42:43]
	v_add_f64_e32 v[46:47], v[69:70], v[83:84]
	v_fma_f64 v[50:51], v[96:97], s[24:25], v[50:51]
	v_add_f64_e32 v[48:49], v[174:175], v[48:49]
	v_add_f64_e32 v[69:70], v[71:72], v[0:1]
	;; [unrolled: 1-line block ×3, first 2 shown]
	v_fma_f64 v[114:115], v[96:97], s[28:29], v[128:129]
	v_add_f64_e32 v[60:61], v[120:121], v[60:61]
	v_fma_f64 v[88:89], v[96:97], s[42:43], v[209:210]
	v_add_f64_e32 v[32:33], v[176:177], v[32:33]
	v_add_f64_e32 v[81:82], v[81:82], v[110:111]
	v_fma_f64 v[83:84], v[96:97], s[2:3], v[213:214]
	v_add_f64_e32 v[52:53], v[54:55], v[104:105]
	v_add_f64_e32 v[54:55], v[24:25], v[106:107]
	v_fma_f64 v[104:105], v[96:97], s[26:27], v[124:125]
	v_fma_f64 v[106:107], v[96:97], s[0:1], v[122:123]
	v_add_f64_e32 v[56:57], v[215:216], v[56:57]
	v_fma_f64 v[96:97], v[96:97], s[36:37], v[209:210]
	v_add_f64_e32 v[20:21], v[134:135], v[26:27]
	v_add_f64_e32 v[22:23], v[146:147], v[34:35]
	;; [unrolled: 1-line block ×29, first 2 shown]
	ds_store_b128 v200, v[12:15] offset:3264
	ds_store_b128 v200, v[20:23] offset:4896
	;; [unrolled: 1-line block ×11, first 2 shown]
	ds_store_b128 v200, v[52:55]
	ds_store_b128 v200, v[0:3] offset:1632
	global_wb scope:SCOPE_SE
	s_wait_dscnt 0x0
	s_barrier_signal -1
	s_barrier_wait -1
	global_inv scope:SCOPE_SE
	s_and_b32 exec_lo, exec_lo, vcc_lo
	s_cbranch_execz .LBB0_23
; %bb.22:
	v_lshlrev_b32_e32 v16, 4, v255
	s_mov_b32 s0, 0x18b64019
	s_mov_b32 s1, 0x3f48b640
	s_mul_u64 s[2:3], s[4:5], 0x4e0
	global_load_b128 v[0:3], v16, s[8:9]
	ds_load_b128 v[4:7], v200
	ds_load_b128 v[8:11], v200 offset:1248
	s_wait_loadcnt_dscnt 0x1
	v_mul_f64_e32 v[12:13], v[6:7], v[2:3]
	v_mul_f64_e32 v[2:3], v[4:5], v[2:3]
	s_delay_alu instid0(VALU_DEP_2) | instskip(NEXT) | instid1(VALU_DEP_2)
	v_fma_f64 v[4:5], v[4:5], v[0:1], v[12:13]
	v_fma_f64 v[2:3], v[0:1], v[6:7], -v[2:3]
	scratch_load_b64 v[0:1], off, off th:TH_LOAD_LU ; 8-byte Folded Reload
	v_mad_co_u64_u32 v[12:13], null, s4, v255, 0
	s_wait_alu 0xfffe
	v_mul_f64_e32 v[2:3], s[0:1], v[2:3]
	s_wait_loadcnt 0x0
	v_mov_b32_e32 v14, v0
	v_mul_f64_e32 v[0:1], s[0:1], v[4:5]
	s_delay_alu instid0(VALU_DEP_4) | instskip(NEXT) | instid1(VALU_DEP_3)
	v_mov_b32_e32 v5, v13
	v_mad_co_u64_u32 v[6:7], null, s6, v14, 0
	s_delay_alu instid0(VALU_DEP_1) | instskip(NEXT) | instid1(VALU_DEP_1)
	v_mov_b32_e32 v4, v7
	v_mad_co_u64_u32 v[13:14], null, s7, v14, v[4:5]
	s_delay_alu instid0(VALU_DEP_3) | instskip(NEXT) | instid1(VALU_DEP_2)
	v_mad_co_u64_u32 v[4:5], null, s5, v255, v[5:6]
	v_mov_b32_e32 v7, v13
	s_delay_alu instid0(VALU_DEP_2) | instskip(NEXT) | instid1(VALU_DEP_2)
	v_mov_b32_e32 v13, v4
	v_lshlrev_b64_e32 v[4:5], 4, v[6:7]
	s_delay_alu instid0(VALU_DEP_2) | instskip(NEXT) | instid1(VALU_DEP_2)
	v_lshlrev_b64_e32 v[6:7], 4, v[12:13]
	v_add_co_u32 v4, vcc_lo, s12, v4
	s_wait_alu 0xfffd
	s_delay_alu instid0(VALU_DEP_3) | instskip(NEXT) | instid1(VALU_DEP_2)
	v_add_co_ci_u32_e32 v5, vcc_lo, s13, v5, vcc_lo
	v_add_co_u32 v4, vcc_lo, v4, v6
	s_wait_alu 0xfffd
	s_delay_alu instid0(VALU_DEP_2) | instskip(NEXT) | instid1(VALU_DEP_2)
	v_add_co_ci_u32_e32 v5, vcc_lo, v5, v7, vcc_lo
	v_add_co_u32 v12, vcc_lo, v4, s2
	global_store_b128 v[4:5], v[0:3], off
	global_load_b128 v[0:3], v16, s[8:9] offset:1248
	s_wait_alu 0xfffd
	v_add_co_ci_u32_e32 v13, vcc_lo, s3, v5, vcc_lo
	s_wait_loadcnt_dscnt 0x0
	v_mul_f64_e32 v[6:7], v[10:11], v[2:3]
	v_mul_f64_e32 v[2:3], v[8:9], v[2:3]
	s_delay_alu instid0(VALU_DEP_2) | instskip(NEXT) | instid1(VALU_DEP_2)
	v_fma_f64 v[6:7], v[8:9], v[0:1], v[6:7]
	v_fma_f64 v[2:3], v[0:1], v[10:11], -v[2:3]
	s_delay_alu instid0(VALU_DEP_2) | instskip(NEXT) | instid1(VALU_DEP_2)
	v_mul_f64_e32 v[0:1], s[0:1], v[6:7]
	v_mul_f64_e32 v[2:3], s[0:1], v[2:3]
	global_store_b128 v[12:13], v[0:3], off
	global_load_b128 v[0:3], v16, s[8:9] offset:2496
	ds_load_b128 v[4:7], v200 offset:2496
	ds_load_b128 v[8:11], v200 offset:3744
	s_wait_loadcnt_dscnt 0x1
	v_mul_f64_e32 v[14:15], v[6:7], v[2:3]
	v_mul_f64_e32 v[2:3], v[4:5], v[2:3]
	s_delay_alu instid0(VALU_DEP_2) | instskip(NEXT) | instid1(VALU_DEP_2)
	v_fma_f64 v[4:5], v[4:5], v[0:1], v[14:15]
	v_fma_f64 v[2:3], v[0:1], v[6:7], -v[2:3]
	s_delay_alu instid0(VALU_DEP_2) | instskip(NEXT) | instid1(VALU_DEP_2)
	v_mul_f64_e32 v[0:1], s[0:1], v[4:5]
	v_mul_f64_e32 v[2:3], s[0:1], v[2:3]
	v_add_co_u32 v4, vcc_lo, v12, s2
	s_wait_alu 0xfffd
	v_add_co_ci_u32_e32 v5, vcc_lo, s3, v13, vcc_lo
	s_delay_alu instid0(VALU_DEP_2) | instskip(SKIP_1) | instid1(VALU_DEP_2)
	v_add_co_u32 v12, vcc_lo, v4, s2
	s_wait_alu 0xfffd
	v_add_co_ci_u32_e32 v13, vcc_lo, s3, v5, vcc_lo
	global_store_b128 v[4:5], v[0:3], off
	global_load_b128 v[0:3], v16, s[8:9] offset:3744
	s_wait_loadcnt_dscnt 0x0
	v_mul_f64_e32 v[6:7], v[10:11], v[2:3]
	v_mul_f64_e32 v[2:3], v[8:9], v[2:3]
	s_delay_alu instid0(VALU_DEP_2) | instskip(NEXT) | instid1(VALU_DEP_2)
	v_fma_f64 v[6:7], v[8:9], v[0:1], v[6:7]
	v_fma_f64 v[2:3], v[0:1], v[10:11], -v[2:3]
	s_delay_alu instid0(VALU_DEP_2) | instskip(NEXT) | instid1(VALU_DEP_2)
	v_mul_f64_e32 v[0:1], s[0:1], v[6:7]
	v_mul_f64_e32 v[2:3], s[0:1], v[2:3]
	global_store_b128 v[12:13], v[0:3], off
	global_load_b128 v[0:3], v16, s[8:9] offset:4992
	ds_load_b128 v[4:7], v200 offset:4992
	ds_load_b128 v[8:11], v200 offset:6240
	s_wait_loadcnt_dscnt 0x1
	v_mul_f64_e32 v[14:15], v[6:7], v[2:3]
	v_mul_f64_e32 v[2:3], v[4:5], v[2:3]
	s_delay_alu instid0(VALU_DEP_2) | instskip(NEXT) | instid1(VALU_DEP_2)
	v_fma_f64 v[4:5], v[4:5], v[0:1], v[14:15]
	v_fma_f64 v[2:3], v[0:1], v[6:7], -v[2:3]
	s_delay_alu instid0(VALU_DEP_2) | instskip(NEXT) | instid1(VALU_DEP_2)
	v_mul_f64_e32 v[0:1], s[0:1], v[4:5]
	v_mul_f64_e32 v[2:3], s[0:1], v[2:3]
	v_add_co_u32 v4, vcc_lo, v12, s2
	s_wait_alu 0xfffd
	v_add_co_ci_u32_e32 v5, vcc_lo, s3, v13, vcc_lo
	s_delay_alu instid0(VALU_DEP_2) | instskip(SKIP_1) | instid1(VALU_DEP_2)
	v_add_co_u32 v12, vcc_lo, v4, s2
	s_wait_alu 0xfffd
	v_add_co_ci_u32_e32 v13, vcc_lo, s3, v5, vcc_lo
	global_store_b128 v[4:5], v[0:3], off
	global_load_b128 v[0:3], v16, s[8:9] offset:6240
	;; [unrolled: 31-line block ×6, first 2 shown]
	s_wait_loadcnt_dscnt 0x0
	v_mul_f64_e32 v[6:7], v[10:11], v[2:3]
	v_mul_f64_e32 v[2:3], v[8:9], v[2:3]
	s_delay_alu instid0(VALU_DEP_2) | instskip(NEXT) | instid1(VALU_DEP_2)
	v_fma_f64 v[6:7], v[8:9], v[0:1], v[6:7]
	v_fma_f64 v[2:3], v[0:1], v[10:11], -v[2:3]
	s_delay_alu instid0(VALU_DEP_2) | instskip(NEXT) | instid1(VALU_DEP_2)
	v_mul_f64_e32 v[0:1], s[0:1], v[6:7]
	v_mul_f64_e32 v[2:3], s[0:1], v[2:3]
	global_store_b128 v[12:13], v[0:3], off
	global_load_b128 v[0:3], v16, s[8:9] offset:17472
	ds_load_b128 v[4:7], v200 offset:17472
	ds_load_b128 v[8:11], v200 offset:18720
	s_wait_loadcnt_dscnt 0x1
	v_mul_f64_e32 v[14:15], v[6:7], v[2:3]
	v_mul_f64_e32 v[2:3], v[4:5], v[2:3]
	s_delay_alu instid0(VALU_DEP_2) | instskip(NEXT) | instid1(VALU_DEP_2)
	v_fma_f64 v[4:5], v[4:5], v[0:1], v[14:15]
	v_fma_f64 v[2:3], v[0:1], v[6:7], -v[2:3]
	s_delay_alu instid0(VALU_DEP_2) | instskip(NEXT) | instid1(VALU_DEP_2)
	v_mul_f64_e32 v[0:1], s[0:1], v[4:5]
	v_mul_f64_e32 v[2:3], s[0:1], v[2:3]
	v_add_co_u32 v4, vcc_lo, v12, s2
	s_wait_alu 0xfffd
	v_add_co_ci_u32_e32 v5, vcc_lo, s3, v13, vcc_lo
	global_store_b128 v[4:5], v[0:3], off
	global_load_b128 v[0:3], v16, s[8:9] offset:18720
	s_wait_loadcnt_dscnt 0x0
	v_mul_f64_e32 v[6:7], v[10:11], v[2:3]
	v_mul_f64_e32 v[2:3], v[8:9], v[2:3]
	s_delay_alu instid0(VALU_DEP_2) | instskip(NEXT) | instid1(VALU_DEP_2)
	v_fma_f64 v[6:7], v[8:9], v[0:1], v[6:7]
	v_fma_f64 v[2:3], v[0:1], v[10:11], -v[2:3]
	v_add_co_u32 v8, vcc_lo, v4, s2
	s_wait_alu 0xfffd
	v_add_co_ci_u32_e32 v9, vcc_lo, s3, v5, vcc_lo
	s_delay_alu instid0(VALU_DEP_4) | instskip(NEXT) | instid1(VALU_DEP_4)
	v_mul_f64_e32 v[0:1], s[0:1], v[6:7]
	v_mul_f64_e32 v[2:3], s[0:1], v[2:3]
	ds_load_b128 v[4:7], v200 offset:19968
	global_store_b128 v[8:9], v[0:3], off
	global_load_b128 v[0:3], v16, s[8:9] offset:19968
	s_wait_loadcnt_dscnt 0x0
	v_mul_f64_e32 v[10:11], v[6:7], v[2:3]
	v_mul_f64_e32 v[2:3], v[4:5], v[2:3]
	s_delay_alu instid0(VALU_DEP_2) | instskip(NEXT) | instid1(VALU_DEP_2)
	v_fma_f64 v[4:5], v[4:5], v[0:1], v[10:11]
	v_fma_f64 v[2:3], v[0:1], v[6:7], -v[2:3]
	s_delay_alu instid0(VALU_DEP_2) | instskip(NEXT) | instid1(VALU_DEP_2)
	v_mul_f64_e32 v[0:1], s[0:1], v[4:5]
	v_mul_f64_e32 v[2:3], s[0:1], v[2:3]
	v_add_co_u32 v4, vcc_lo, v8, s2
	s_wait_alu 0xfffd
	v_add_co_ci_u32_e32 v5, vcc_lo, s3, v9, vcc_lo
	global_store_b128 v[4:5], v[0:3], off
.LBB0_23:
	s_endpgm
	.section	.rodata,"a",@progbits
	.p2align	6, 0x0
	.amdhsa_kernel bluestein_single_fwd_len1326_dim1_dp_op_CI_CI
		.amdhsa_group_segment_fixed_size 42432
		.amdhsa_private_segment_fixed_size 744
		.amdhsa_kernarg_size 104
		.amdhsa_user_sgpr_count 2
		.amdhsa_user_sgpr_dispatch_ptr 0
		.amdhsa_user_sgpr_queue_ptr 0
		.amdhsa_user_sgpr_kernarg_segment_ptr 1
		.amdhsa_user_sgpr_dispatch_id 0
		.amdhsa_user_sgpr_private_segment_size 0
		.amdhsa_wavefront_size32 1
		.amdhsa_uses_dynamic_stack 0
		.amdhsa_enable_private_segment 1
		.amdhsa_system_sgpr_workgroup_id_x 1
		.amdhsa_system_sgpr_workgroup_id_y 0
		.amdhsa_system_sgpr_workgroup_id_z 0
		.amdhsa_system_sgpr_workgroup_info 0
		.amdhsa_system_vgpr_workitem_id 0
		.amdhsa_next_free_vgpr 256
		.amdhsa_next_free_sgpr 60
		.amdhsa_reserve_vcc 1
		.amdhsa_float_round_mode_32 0
		.amdhsa_float_round_mode_16_64 0
		.amdhsa_float_denorm_mode_32 3
		.amdhsa_float_denorm_mode_16_64 3
		.amdhsa_fp16_overflow 0
		.amdhsa_workgroup_processor_mode 1
		.amdhsa_memory_ordered 1
		.amdhsa_forward_progress 0
		.amdhsa_round_robin_scheduling 0
		.amdhsa_exception_fp_ieee_invalid_op 0
		.amdhsa_exception_fp_denorm_src 0
		.amdhsa_exception_fp_ieee_div_zero 0
		.amdhsa_exception_fp_ieee_overflow 0
		.amdhsa_exception_fp_ieee_underflow 0
		.amdhsa_exception_fp_ieee_inexact 0
		.amdhsa_exception_int_div_zero 0
	.end_amdhsa_kernel
	.text
.Lfunc_end0:
	.size	bluestein_single_fwd_len1326_dim1_dp_op_CI_CI, .Lfunc_end0-bluestein_single_fwd_len1326_dim1_dp_op_CI_CI
                                        ; -- End function
	.section	.AMDGPU.csdata,"",@progbits
; Kernel info:
; codeLenInByte = 29356
; NumSgprs: 62
; NumVgprs: 256
; ScratchSize: 744
; MemoryBound: 0
; FloatMode: 240
; IeeeMode: 1
; LDSByteSize: 42432 bytes/workgroup (compile time only)
; SGPRBlocks: 7
; VGPRBlocks: 31
; NumSGPRsForWavesPerEU: 62
; NumVGPRsForWavesPerEU: 256
; Occupancy: 5
; WaveLimiterHint : 1
; COMPUTE_PGM_RSRC2:SCRATCH_EN: 1
; COMPUTE_PGM_RSRC2:USER_SGPR: 2
; COMPUTE_PGM_RSRC2:TRAP_HANDLER: 0
; COMPUTE_PGM_RSRC2:TGID_X_EN: 1
; COMPUTE_PGM_RSRC2:TGID_Y_EN: 0
; COMPUTE_PGM_RSRC2:TGID_Z_EN: 0
; COMPUTE_PGM_RSRC2:TIDIG_COMP_CNT: 0
	.text
	.p2alignl 7, 3214868480
	.fill 96, 4, 3214868480
	.type	__hip_cuid_9eed235c441555ce,@object ; @__hip_cuid_9eed235c441555ce
	.section	.bss,"aw",@nobits
	.globl	__hip_cuid_9eed235c441555ce
__hip_cuid_9eed235c441555ce:
	.byte	0                               ; 0x0
	.size	__hip_cuid_9eed235c441555ce, 1

	.ident	"AMD clang version 19.0.0git (https://github.com/RadeonOpenCompute/llvm-project roc-6.4.0 25133 c7fe45cf4b819c5991fe208aaa96edf142730f1d)"
	.section	".note.GNU-stack","",@progbits
	.addrsig
	.addrsig_sym __hip_cuid_9eed235c441555ce
	.amdgpu_metadata
---
amdhsa.kernels:
  - .args:
      - .actual_access:  read_only
        .address_space:  global
        .offset:         0
        .size:           8
        .value_kind:     global_buffer
      - .actual_access:  read_only
        .address_space:  global
        .offset:         8
        .size:           8
        .value_kind:     global_buffer
      - .actual_access:  read_only
        .address_space:  global
        .offset:         16
        .size:           8
        .value_kind:     global_buffer
      - .actual_access:  read_only
        .address_space:  global
        .offset:         24
        .size:           8
        .value_kind:     global_buffer
      - .actual_access:  read_only
        .address_space:  global
        .offset:         32
        .size:           8
        .value_kind:     global_buffer
      - .offset:         40
        .size:           8
        .value_kind:     by_value
      - .address_space:  global
        .offset:         48
        .size:           8
        .value_kind:     global_buffer
      - .address_space:  global
        .offset:         56
        .size:           8
        .value_kind:     global_buffer
      - .address_space:  global
        .offset:         64
        .size:           8
        .value_kind:     global_buffer
      - .address_space:  global
        .offset:         72
        .size:           8
        .value_kind:     global_buffer
      - .offset:         80
        .size:           4
        .value_kind:     by_value
      - .address_space:  global
        .offset:         88
        .size:           8
        .value_kind:     global_buffer
      - .address_space:  global
        .offset:         96
        .size:           8
        .value_kind:     global_buffer
    .group_segment_fixed_size: 42432
    .kernarg_segment_align: 8
    .kernarg_segment_size: 104
    .language:       OpenCL C
    .language_version:
      - 2
      - 0
    .max_flat_workgroup_size: 204
    .name:           bluestein_single_fwd_len1326_dim1_dp_op_CI_CI
    .private_segment_fixed_size: 744
    .sgpr_count:     62
    .sgpr_spill_count: 0
    .symbol:         bluestein_single_fwd_len1326_dim1_dp_op_CI_CI.kd
    .uniform_work_group_size: 1
    .uses_dynamic_stack: false
    .vgpr_count:     256
    .vgpr_spill_count: 262
    .wavefront_size: 32
    .workgroup_processor_mode: 1
amdhsa.target:   amdgcn-amd-amdhsa--gfx1201
amdhsa.version:
  - 1
  - 2
...

	.end_amdgpu_metadata
